;; amdgpu-corpus repo=ROCm/vllm kind=compiled arch=gfx950 opt=O3
	.amdgcn_target "amdgcn-amd-amdhsa--gfx950"
	.amdhsa_code_object_version 6
	.section	.text._ZN4vllm24act_and_mul_quant_kernelIfTnPFT_RKS1_EXadL_ZNS_11silu_kernelIfEES1_S3_EEN3c1013Float8_e4m3fnEEEvPT1_PS2_PKfi,"axG",@progbits,_ZN4vllm24act_and_mul_quant_kernelIfTnPFT_RKS1_EXadL_ZNS_11silu_kernelIfEES1_S3_EEN3c1013Float8_e4m3fnEEEvPT1_PS2_PKfi,comdat
	.protected	_ZN4vllm24act_and_mul_quant_kernelIfTnPFT_RKS1_EXadL_ZNS_11silu_kernelIfEES1_S3_EEN3c1013Float8_e4m3fnEEEvPT1_PS2_PKfi ; -- Begin function _ZN4vllm24act_and_mul_quant_kernelIfTnPFT_RKS1_EXadL_ZNS_11silu_kernelIfEES1_S3_EEN3c1013Float8_e4m3fnEEEvPT1_PS2_PKfi
	.globl	_ZN4vllm24act_and_mul_quant_kernelIfTnPFT_RKS1_EXadL_ZNS_11silu_kernelIfEES1_S3_EEN3c1013Float8_e4m3fnEEEvPT1_PS2_PKfi
	.p2align	8
	.type	_ZN4vllm24act_and_mul_quant_kernelIfTnPFT_RKS1_EXadL_ZNS_11silu_kernelIfEES1_S3_EEN3c1013Float8_e4m3fnEEEvPT1_PS2_PKfi,@function
_ZN4vllm24act_and_mul_quant_kernelIfTnPFT_RKS1_EXadL_ZNS_11silu_kernelIfEES1_S3_EEN3c1013Float8_e4m3fnEEEvPT1_PS2_PKfi: ; @_ZN4vllm24act_and_mul_quant_kernelIfTnPFT_RKS1_EXadL_ZNS_11silu_kernelIfEES1_S3_EEN3c1013Float8_e4m3fnEEEvPT1_PS2_PKfi
; %bb.0:
	s_mov_b32 s4, s3
	s_load_dword s3, s[0:1], 0x24
	s_add_u32 s14, s0, 32
	s_addc_u32 s15, s1, 0
	s_load_dword s30, s[0:1], 0x18
	s_load_dwordx2 s[16:17], s[0:1], 0x0
	s_waitcnt lgkmcnt(0)
	s_abs_i32 s5, s3
	v_cvt_f32_u32_e32 v1, s5
	s_sub_i32 s7, 0, s5
	s_add_i32 s6, s30, s3
	s_add_i32 s6, s6, -1
	v_rcp_iflag_f32_e32 v1, v1
	s_xor_b32 s3, s6, s3
	s_abs_i32 s6, s6
	s_ashr_i32 s3, s3, 31
	v_mul_f32_e32 v1, 0x4f7ffffe, v1
	v_cvt_u32_f32_e32 v1, v1
	s_nop 0
	v_readfirstlane_b32 s8, v1
	s_mul_i32 s7, s7, s8
	s_mul_hi_u32 s7, s8, s7
	s_add_i32 s8, s8, s7
	s_mul_hi_u32 s7, s6, s8
	s_mul_i32 s8, s7, s5
	s_sub_i32 s6, s6, s8
	s_add_i32 s8, s7, 1
	s_sub_i32 s9, s6, s5
	s_cmp_ge_u32 s6, s5
	s_cselect_b32 s7, s8, s7
	s_cselect_b32 s6, s9, s6
	s_add_i32 s8, s7, 1
	s_cmp_ge_u32 s6, s5
	s_cselect_b32 s5, s8, s7
	s_xor_b32 s5, s5, s3
	s_sub_i32 s5, s5, s3
	s_and_b32 s3, s5, 3
	s_cmp_eq_u32 s3, 0
	s_mov_b32 s3, 0
	s_cbranch_scc1 .LBB0_2
; %bb.1:
	s_ashr_i32 s6, s5, 31
	s_lshr_b32 s6, s6, 30
	s_add_i32 s5, s5, s6
	s_and_b32 s5, s5, -4
	s_add_i32 s5, s5, 4
.LBB0_2:
	s_mul_i32 s4, s5, s4
	s_add_i32 s5, s4, s5
	s_min_i32 s12, s5, s30
	s_abs_i32 s5, s12
	v_cvt_f32_u32_e32 v1, s5
	s_ashr_i32 s31, s30, 31
	s_load_dwordx4 s[8:11], s[0:1], 0x8
	s_mul_hi_u32 s0, s30, s2
	v_rcp_iflag_f32_e32 v1, v1
	s_mul_i32 s1, s31, s2
	s_add_i32 s19, s0, s1
	s_sub_i32 s0, 0, s5
	v_mul_f32_e32 v1, 0x4f7ffffe, v1
	v_cvt_u32_f32_e32 v1, v1
	s_waitcnt lgkmcnt(0)
	s_load_dword s6, s[10:11], 0x0
	s_mul_i32 s18, s30, s2
	v_readfirstlane_b32 s1, v1
	s_mul_i32 s0, s0, s1
	s_mul_hi_u32 s0, s1, s0
	s_add_i32 s1, s1, s0
	s_lshr_b32 s0, s1, 30
	s_mul_i32 s0, s0, s5
	s_sub_i32 s0, 4, s0
	s_sub_i32 s1, s0, s5
	s_cmp_ge_u32 s0, s5
	s_cselect_b32 s0, s1, s0
	s_sub_i32 s1, s0, s5
	s_cmp_ge_u32 s0, s5
	s_cselect_b32 s13, s1, s0
	s_cmp_eq_u32 s13, 0
	s_cselect_b64 s[0:1], -1, 0
	v_cndmask_b32_e64 v13, 0, 1, s[0:1]
	s_waitcnt lgkmcnt(0)
	v_div_scale_f32 v1, s[0:1], s6, s6, 1.0
	v_rcp_f32_e32 v2, v1
	s_ashr_i32 s5, s4, 31
	s_lshr_b32 s0, s5, 30
	s_add_i32 s4, s4, s0
	v_fma_f32 v3, -v1, v2, 1.0
	v_fmac_f32_e32 v2, v3, v2
	v_div_scale_f32 v3, vcc, 1.0, s6, 1.0
	v_mul_f32_e32 v4, v3, v2
	v_fma_f32 v5, -v1, v4, v3
	v_fmac_f32_e32 v4, v5, v2
	s_ashr_i32 s0, s4, 2
	v_fma_f32 v1, -v1, v4, v3
	v_div_fmas_f32 v1, v1, v2, v4
	v_add_u32_e32 v14, s0, v0
	v_div_fixup_f32 v12, v1, s6, 1.0
	v_cmp_lt_i32_e32 vcc, v14, v13
	s_and_saveexec_b64 s[10:11], vcc
	s_cbranch_execz .LBB0_5
; %bb.3:
	s_load_dword s4, s[14:15], 0xc
	v_mov_b32_e32 v3, 0
	s_ashr_i32 s1, s0, 31
	v_mov_b32_e32 v1, v3
	v_lshl_add_u64 v[6:7], s[0:1], 0, v[0:1]
	s_lshl_b64 s[0:1], s[2:3], 3
	s_or_b32 s0, s0, 4
	s_waitcnt lgkmcnt(0)
	s_and_b32 s33, s4, 0xffff
	s_mul_i32 s4, s0, s31
	s_mul_hi_u32 s5, s0, s30
	s_add_i32 s4, s5, s4
	s_mul_i32 s1, s1, s30
	s_lshl_b64 s[20:21], s[18:19], 3
	s_lshl_b32 s22, s33, 4
	s_add_i32 s25, s4, s1
	s_mul_i32 s24, s0, s30
	s_add_u32 s0, s16, s18
	s_mov_b32 s23, 0
	s_addc_u32 s1, s17, s19
	v_lshl_add_u64 v[4:5], v[6:7], 4, s[8:9]
	v_lshl_add_u64 v[6:7], v[6:7], 3, s[0:1]
	s_lshl_b32 s26, s33, 3
	s_mov_b32 s27, s23
	s_mov_b64 s[28:29], 0
	s_mov_b32 s34, 0xbfb8aa3b
	s_mov_b32 s35, 0x42ce8ed0
	;; [unrolled: 1-line block ×4, first 2 shown]
	v_mov_b32_e32 v1, 0x7f800000
	s_mov_b32 s38, 0x43e00000
	v_mov_b32_e32 v15, 0xc3e00000
	s_mov_b32 s39, 0x4020c0c
.LBB0_4:                                ; =>This Inner Loop Header: Depth=1
	v_lshl_add_u64 v[8:9], v[4:5], 0, s[20:21]
	v_lshl_add_u64 v[10:11], v[4:5], 0, s[24:25]
	global_load_dwordx4 v[16:19], v[8:9], off
	global_load_dwordx4 v[20:23], v[10:11], off
	v_add_u32_e32 v14, s33, v14
	v_cmp_ge_i32_e32 vcc, v14, v13
	s_or_b64 s[28:29], vcc, s[28:29]
	v_mov_b32_e32 v2, 0
	v_mov_b32_e32 v24, 0
	;; [unrolled: 1-line block ×4, first 2 shown]
	v_lshl_add_u64 v[4:5], v[4:5], 0, s[22:23]
	s_waitcnt vmcnt(1)
	v_mul_f32_e32 v8, 0xbfb8aa3b, v16
	v_mul_f32_e32 v9, 0xbfb8aa3b, v17
	v_fma_f32 v27, v16, s34, -v8
	v_rndne_f32_e32 v28, v8
	v_mul_f32_e32 v10, 0xbfb8aa3b, v18
	v_fma_f32 v29, v17, s34, -v9
	v_rndne_f32_e32 v30, v9
	v_fmac_f32_e32 v27, 0xb2a5705f, v16
	v_sub_f32_e32 v8, v8, v28
	v_mul_f32_e32 v11, 0xbfb8aa3b, v19
	v_fma_f32 v31, v18, s34, -v10
	v_rndne_f32_e32 v32, v10
	v_fmac_f32_e32 v29, 0xb2a5705f, v17
	v_sub_f32_e32 v9, v9, v30
	v_add_f32_e32 v8, v8, v27
	v_fma_f32 v33, v19, s34, -v11
	v_rndne_f32_e32 v34, v11
	v_cvt_i32_f32_e32 v28, v28
	v_fmac_f32_e32 v31, 0xb2a5705f, v18
	v_sub_f32_e32 v10, v10, v32
	v_add_f32_e32 v9, v9, v29
	v_exp_f32_e32 v8, v8
	v_cvt_i32_f32_e32 v30, v30
	v_fmac_f32_e32 v33, 0xb2a5705f, v19
	v_sub_f32_e32 v11, v11, v34
	v_add_f32_e32 v10, v10, v31
	v_exp_f32_e32 v9, v9
	v_cvt_i32_f32_e32 v32, v32
	v_add_f32_e32 v11, v11, v33
	v_exp_f32_e32 v10, v10
	v_cvt_i32_f32_e32 v34, v34
	v_exp_f32_e32 v11, v11
	v_ldexp_f32 v8, v8, v28
	v_cmp_nlt_f32_e64 s[6:7], s35, v16
	v_ldexp_f32 v9, v9, v30
	v_cmp_nlt_f32_e32 vcc, s35, v17
	v_cndmask_b32_e64 v8, 0, v8, s[6:7]
	v_cmp_ngt_f32_e64 s[6:7], s36, v16
	v_ldexp_f32 v10, v10, v32
	v_cmp_nlt_f32_e64 s[0:1], s35, v18
	v_cndmask_b32_e32 v9, 0, v9, vcc
	v_cmp_ngt_f32_e32 vcc, s36, v17
	v_cndmask_b32_e64 v8, v1, v8, s[6:7]
	v_ldexp_f32 v11, v11, v34
	v_cmp_nlt_f32_e64 s[4:5], s35, v19
	v_cndmask_b32_e64 v10, 0, v10, s[0:1]
	v_cmp_ngt_f32_e64 s[0:1], s36, v18
	v_cndmask_b32_e32 v9, v1, v9, vcc
	v_add_f32_e32 v8, 1.0, v8
	v_cndmask_b32_e64 v11, 0, v11, s[4:5]
	v_cmp_ngt_f32_e64 s[4:5], s36, v19
	v_cndmask_b32_e64 v10, v1, v10, s[0:1]
	v_add_f32_e32 v9, 1.0, v9
	v_div_scale_f32 v27, s[0:1], v8, v8, v16
	v_cndmask_b32_e64 v11, v1, v11, s[4:5]
	v_add_f32_e32 v10, 1.0, v10
	v_div_scale_f32 v29, s[0:1], v9, v9, v17
	v_rcp_f32_e32 v35, v27
	v_add_f32_e32 v11, 1.0, v11
	v_div_scale_f32 v31, s[4:5], v10, v10, v18
	v_rcp_f32_e32 v36, v29
	v_div_scale_f32 v33, s[6:7], v11, v11, v19
	v_rcp_f32_e32 v37, v31
	v_rcp_f32_e32 v38, v33
	v_fma_f32 v39, -v27, v35, 1.0
	v_div_scale_f32 v28, vcc, v16, v8, v16
	v_fma_f32 v40, -v29, v36, 1.0
	v_fmac_f32_e32 v35, v39, v35
	v_div_scale_f32 v30, s[0:1], v17, v9, v17
	v_fma_f32 v41, -v31, v37, 1.0
	v_fmac_f32_e32 v36, v40, v36
	v_mul_f32_e32 v39, v28, v35
	v_div_scale_f32 v32, s[4:5], v18, v10, v18
	v_fma_f32 v42, -v33, v38, 1.0
	v_fmac_f32_e32 v37, v41, v37
	v_mul_f32_e32 v40, v30, v36
	v_fma_f32 v43, -v27, v39, v28
	v_div_scale_f32 v34, s[6:7], v19, v11, v19
	v_fmac_f32_e32 v38, v42, v38
	v_mul_f32_e32 v41, v32, v37
	v_fma_f32 v44, -v29, v40, v30
	v_fmac_f32_e32 v39, v43, v35
	v_mul_f32_e32 v42, v34, v38
	v_fma_f32 v45, -v31, v41, v32
	v_fmac_f32_e32 v40, v44, v36
	v_fma_f32 v27, -v27, v39, v28
	v_fma_f32 v46, -v33, v42, v34
	v_fmac_f32_e32 v41, v45, v37
	v_fma_f32 v28, -v29, v40, v30
	v_div_fmas_f32 v27, v27, v35, v39
	s_mov_b64 vcc, s[0:1]
	v_fmac_f32_e32 v42, v46, v38
	v_fma_f32 v29, -v31, v41, v32
	v_div_fixup_f32 v8, v27, v8, v16
	v_div_fmas_f32 v16, v28, v36, v40
	s_mov_b64 vcc, s[4:5]
	v_fma_f32 v30, -v33, v42, v34
	s_waitcnt vmcnt(0)
	v_mul_f32_e32 v8, v20, v8
	v_div_fixup_f32 v9, v16, v9, v17
	v_div_fmas_f32 v16, v29, v37, v41
	s_mov_b64 vcc, s[6:7]
	v_mul_f32_e32 v8, v12, v8
	v_mul_f32_e32 v9, v21, v9
	v_div_fixup_f32 v10, v16, v10, v18
	v_div_fmas_f32 v16, v30, v38, v42
	v_min_f32_e32 v8, 0x43e00000, v8
	v_mul_f32_e32 v9, v12, v9
	v_mul_f32_e32 v10, v22, v10
	v_div_fixup_f32 v11, v16, v11, v19
	v_max_f32_e32 v8, 0xc3e00000, v8
	v_min_f32_e32 v9, 0x43e00000, v9
	v_mul_f32_e32 v10, v12, v10
	v_mul_f32_e32 v11, v23, v11
	v_med3_f32 v16, v8, s38, v15
	v_max_f32_e32 v9, 0xc3e00000, v9
	v_min_f32_e32 v10, 0x43e00000, v10
	v_mul_f32_e32 v11, v12, v11
	v_cmp_nlg_f32_e64 vcc, |v8|, s37
	v_max_f32_e32 v10, 0xc3e00000, v10
	v_min_f32_e32 v11, 0x43e00000, v11
	v_cndmask_b32_e32 v8, v16, v8, vcc
	v_med3_f32 v16, v9, s38, v15
	v_cmp_nlg_f32_e64 vcc, |v9|, s37
	v_cvt_pk_fp8_f32 v2, v8, v8
	v_max_f32_e32 v11, 0xc3e00000, v11
	v_cndmask_b32_e32 v8, v16, v9, vcc
	v_med3_f32 v9, v10, s38, v15
	v_cmp_nlg_f32_e64 vcc, |v10|, s37
	v_cvt_pk_fp8_f32 v24, v8, v8
	v_and_b32_e32 v2, 0xff, v2
	v_cndmask_b32_e32 v8, v9, v10, vcc
	v_med3_f32 v9, v11, s38, v15
	v_cmp_nlg_f32_e64 vcc, |v11|, s37
	v_cvt_pk_fp8_f32 v25, v8, v8
	s_nop 0
	v_cndmask_b32_e32 v8, v9, v11, vcc
	v_cvt_pk_fp8_f32 v26, v8, v8
	v_lshlrev_b32_e32 v8, 8, v24
	v_lshlrev_b32_e32 v9, 16, v25
	v_and_b32_e32 v8, 0xff00, v8
	v_perm_b32 v9, v26, v9, s39
	v_or3_b32 v2, v9, v8, v2
	global_store_dwordx2 v[6:7], v[2:3], off
	v_lshl_add_u64 v[6:7], v[6:7], 0, s[26:27]
	s_andn2_b64 exec, exec, s[28:29]
	s_cbranch_execnz .LBB0_4
.LBB0_5:
	s_or_b64 exec, exec, s[10:11]
	s_sub_i32 s0, 4, s13
	s_cmp_gt_i32 s12, s0
	s_cbranch_scc0 .LBB0_9
; %bb.6:
	v_add_u32_e32 v0, s0, v0
	v_cmp_gt_u32_e32 vcc, s12, v0
	s_and_saveexec_b64 s[0:1], vcc
	s_cbranch_execz .LBB0_9
; %bb.7:
	s_load_dword s4, s[14:15], 0xc
	s_add_u32 s0, s16, s18
	s_addc_u32 s1, s17, s19
	s_lshl_b64 s[2:3], s[2:3], 3
	s_or_b32 s2, s2, 4
	v_mov_b32_e32 v1, 0
	s_mul_i32 s6, s2, s31
	s_mul_hi_u32 s7, s2, s30
	s_mov_b32 s13, 0
	s_waitcnt lgkmcnt(0)
	s_and_b32 s4, s4, 0xffff
	s_add_i32 s6, s7, s6
	s_mul_i32 s3, s3, s30
	v_lshlrev_b32_e32 v2, 2, v0
	v_mov_b32_e32 v3, v1
	s_mov_b32 s5, s13
	s_add_i32 s3, s6, s3
	s_mul_i32 s2, s2, s30
	v_lshl_add_u64 v[2:3], s[8:9], 0, v[2:3]
	s_lshl_b32 s6, s4, 2
	s_mov_b32 s7, s13
	s_lshl_b64 s[8:9], s[18:19], 3
	s_mov_b64 s[10:11], 0
	s_mov_b32 s14, 0xbfb8aa3b
	s_mov_b32 s15, 0x42ce8ed0
	;; [unrolled: 1-line block ×4, first 2 shown]
	v_mov_b32_e32 v4, 0x7f800000
	s_mov_b32 s18, 0x43e00000
	v_mov_b32_e32 v5, 0xc3e00000
.LBB0_8:                                ; =>This Inner Loop Header: Depth=1
	v_lshl_add_u64 v[6:7], v[2:3], 0, s[8:9]
	global_load_dword v8, v[6:7], off
	v_lshl_add_u64 v[6:7], v[2:3], 0, s[2:3]
	global_load_dword v9, v[6:7], off
	v_mov_b32_e32 v10, 0
	v_lshl_add_u64 v[6:7], s[0:1], 0, v[0:1]
	v_lshl_add_u64 v[0:1], v[0:1], 0, s[4:5]
	v_lshl_add_u64 v[2:3], v[2:3], 0, s[6:7]
	s_waitcnt vmcnt(1)
	v_mul_f32_e32 v11, 0xbfb8aa3b, v8
	v_fma_f32 v13, v8, s14, -v11
	v_rndne_f32_e32 v14, v11
	v_fmac_f32_e32 v13, 0xb2a5705f, v8
	v_sub_f32_e32 v11, v11, v14
	v_add_f32_e32 v11, v11, v13
	v_cvt_i32_f32_e32 v14, v14
	v_exp_f32_e32 v11, v11
	v_cmp_nlt_f32_e32 vcc, s15, v8
	v_ldexp_f32 v11, v11, v14
	s_nop 0
	v_cndmask_b32_e32 v11, 0, v11, vcc
	v_cmp_ngt_f32_e32 vcc, s16, v8
	s_nop 1
	v_cndmask_b32_e32 v11, v4, v11, vcc
	v_add_f32_e32 v11, 1.0, v11
	v_div_scale_f32 v13, s[20:21], v11, v11, v8
	v_rcp_f32_e32 v14, v13
	v_div_scale_f32 v15, vcc, v8, v11, v8
	v_fma_f32 v16, -v13, v14, 1.0
	v_fmac_f32_e32 v14, v16, v14
	v_mul_f32_e32 v16, v15, v14
	v_fma_f32 v17, -v13, v16, v15
	v_fmac_f32_e32 v16, v17, v14
	v_fma_f32 v13, -v13, v16, v15
	v_div_fmas_f32 v13, v13, v14, v16
	v_div_fixup_f32 v8, v13, v11, v8
	s_waitcnt vmcnt(0)
	v_mul_f32_e32 v8, v9, v8
	v_mul_f32_e32 v8, v12, v8
	v_min_f32_e32 v8, 0x43e00000, v8
	v_max_f32_e32 v8, 0xc3e00000, v8
	v_med3_f32 v9, v8, s18, v5
	v_cmp_nlg_f32_e64 vcc, |v8|, s17
	s_nop 1
	v_cndmask_b32_e32 v8, v9, v8, vcc
	v_cvt_pk_fp8_f32 v10, v8, v8
	v_cmp_le_u64_e32 vcc, s[12:13], v[0:1]
	s_or_b64 s[10:11], vcc, s[10:11]
	global_store_byte v[6:7], v10, off
	s_andn2_b64 exec, exec, s[10:11]
	s_cbranch_execnz .LBB0_8
.LBB0_9:
	s_endpgm
	.section	.rodata,"a",@progbits
	.p2align	6, 0x0
	.amdhsa_kernel _ZN4vllm24act_and_mul_quant_kernelIfTnPFT_RKS1_EXadL_ZNS_11silu_kernelIfEES1_S3_EEN3c1013Float8_e4m3fnEEEvPT1_PS2_PKfi
		.amdhsa_group_segment_fixed_size 0
		.amdhsa_private_segment_fixed_size 0
		.amdhsa_kernarg_size 288
		.amdhsa_user_sgpr_count 2
		.amdhsa_user_sgpr_dispatch_ptr 0
		.amdhsa_user_sgpr_queue_ptr 0
		.amdhsa_user_sgpr_kernarg_segment_ptr 1
		.amdhsa_user_sgpr_dispatch_id 0
		.amdhsa_user_sgpr_kernarg_preload_length 0
		.amdhsa_user_sgpr_kernarg_preload_offset 0
		.amdhsa_user_sgpr_private_segment_size 0
		.amdhsa_uses_dynamic_stack 0
		.amdhsa_enable_private_segment 0
		.amdhsa_system_sgpr_workgroup_id_x 1
		.amdhsa_system_sgpr_workgroup_id_y 1
		.amdhsa_system_sgpr_workgroup_id_z 0
		.amdhsa_system_sgpr_workgroup_info 0
		.amdhsa_system_vgpr_workitem_id 0
		.amdhsa_next_free_vgpr 47
		.amdhsa_next_free_sgpr 40
		.amdhsa_accum_offset 48
		.amdhsa_reserve_vcc 1
		.amdhsa_float_round_mode_32 0
		.amdhsa_float_round_mode_16_64 0
		.amdhsa_float_denorm_mode_32 3
		.amdhsa_float_denorm_mode_16_64 3
		.amdhsa_dx10_clamp 1
		.amdhsa_ieee_mode 1
		.amdhsa_fp16_overflow 0
		.amdhsa_tg_split 0
		.amdhsa_exception_fp_ieee_invalid_op 0
		.amdhsa_exception_fp_denorm_src 0
		.amdhsa_exception_fp_ieee_div_zero 0
		.amdhsa_exception_fp_ieee_overflow 0
		.amdhsa_exception_fp_ieee_underflow 0
		.amdhsa_exception_fp_ieee_inexact 0
		.amdhsa_exception_int_div_zero 0
	.end_amdhsa_kernel
	.section	.text._ZN4vllm24act_and_mul_quant_kernelIfTnPFT_RKS1_EXadL_ZNS_11silu_kernelIfEES1_S3_EEN3c1013Float8_e4m3fnEEEvPT1_PS2_PKfi,"axG",@progbits,_ZN4vllm24act_and_mul_quant_kernelIfTnPFT_RKS1_EXadL_ZNS_11silu_kernelIfEES1_S3_EEN3c1013Float8_e4m3fnEEEvPT1_PS2_PKfi,comdat
.Lfunc_end0:
	.size	_ZN4vllm24act_and_mul_quant_kernelIfTnPFT_RKS1_EXadL_ZNS_11silu_kernelIfEES1_S3_EEN3c1013Float8_e4m3fnEEEvPT1_PS2_PKfi, .Lfunc_end0-_ZN4vllm24act_and_mul_quant_kernelIfTnPFT_RKS1_EXadL_ZNS_11silu_kernelIfEES1_S3_EEN3c1013Float8_e4m3fnEEEvPT1_PS2_PKfi
                                        ; -- End function
	.set _ZN4vllm24act_and_mul_quant_kernelIfTnPFT_RKS1_EXadL_ZNS_11silu_kernelIfEES1_S3_EEN3c1013Float8_e4m3fnEEEvPT1_PS2_PKfi.num_vgpr, 47
	.set _ZN4vllm24act_and_mul_quant_kernelIfTnPFT_RKS1_EXadL_ZNS_11silu_kernelIfEES1_S3_EEN3c1013Float8_e4m3fnEEEvPT1_PS2_PKfi.num_agpr, 0
	.set _ZN4vllm24act_and_mul_quant_kernelIfTnPFT_RKS1_EXadL_ZNS_11silu_kernelIfEES1_S3_EEN3c1013Float8_e4m3fnEEEvPT1_PS2_PKfi.numbered_sgpr, 40
	.set _ZN4vllm24act_and_mul_quant_kernelIfTnPFT_RKS1_EXadL_ZNS_11silu_kernelIfEES1_S3_EEN3c1013Float8_e4m3fnEEEvPT1_PS2_PKfi.num_named_barrier, 0
	.set _ZN4vllm24act_and_mul_quant_kernelIfTnPFT_RKS1_EXadL_ZNS_11silu_kernelIfEES1_S3_EEN3c1013Float8_e4m3fnEEEvPT1_PS2_PKfi.private_seg_size, 0
	.set _ZN4vllm24act_and_mul_quant_kernelIfTnPFT_RKS1_EXadL_ZNS_11silu_kernelIfEES1_S3_EEN3c1013Float8_e4m3fnEEEvPT1_PS2_PKfi.uses_vcc, 1
	.set _ZN4vllm24act_and_mul_quant_kernelIfTnPFT_RKS1_EXadL_ZNS_11silu_kernelIfEES1_S3_EEN3c1013Float8_e4m3fnEEEvPT1_PS2_PKfi.uses_flat_scratch, 0
	.set _ZN4vllm24act_and_mul_quant_kernelIfTnPFT_RKS1_EXadL_ZNS_11silu_kernelIfEES1_S3_EEN3c1013Float8_e4m3fnEEEvPT1_PS2_PKfi.has_dyn_sized_stack, 0
	.set _ZN4vllm24act_and_mul_quant_kernelIfTnPFT_RKS1_EXadL_ZNS_11silu_kernelIfEES1_S3_EEN3c1013Float8_e4m3fnEEEvPT1_PS2_PKfi.has_recursion, 0
	.set _ZN4vllm24act_and_mul_quant_kernelIfTnPFT_RKS1_EXadL_ZNS_11silu_kernelIfEES1_S3_EEN3c1013Float8_e4m3fnEEEvPT1_PS2_PKfi.has_indirect_call, 0
	.section	.AMDGPU.csdata,"",@progbits
; Kernel info:
; codeLenInByte = 2120
; TotalNumSgprs: 46
; NumVgprs: 47
; NumAgprs: 0
; TotalNumVgprs: 47
; ScratchSize: 0
; MemoryBound: 0
; FloatMode: 240
; IeeeMode: 1
; LDSByteSize: 0 bytes/workgroup (compile time only)
; SGPRBlocks: 5
; VGPRBlocks: 5
; NumSGPRsForWavesPerEU: 46
; NumVGPRsForWavesPerEU: 47
; AccumOffset: 48
; Occupancy: 8
; WaveLimiterHint : 0
; COMPUTE_PGM_RSRC2:SCRATCH_EN: 0
; COMPUTE_PGM_RSRC2:USER_SGPR: 2
; COMPUTE_PGM_RSRC2:TRAP_HANDLER: 0
; COMPUTE_PGM_RSRC2:TGID_X_EN: 1
; COMPUTE_PGM_RSRC2:TGID_Y_EN: 1
; COMPUTE_PGM_RSRC2:TGID_Z_EN: 0
; COMPUTE_PGM_RSRC2:TIDIG_COMP_CNT: 0
; COMPUTE_PGM_RSRC3_GFX90A:ACCUM_OFFSET: 11
; COMPUTE_PGM_RSRC3_GFX90A:TG_SPLIT: 0
	.section	.text._ZN4vllm24act_and_mul_quant_kernelIfTnPFT_RKS1_EXadL_ZNS_11silu_kernelIfEES1_S3_EEN3c1015Float8_e4m3fnuzEEEvPT1_PS2_PKfi,"axG",@progbits,_ZN4vllm24act_and_mul_quant_kernelIfTnPFT_RKS1_EXadL_ZNS_11silu_kernelIfEES1_S3_EEN3c1015Float8_e4m3fnuzEEEvPT1_PS2_PKfi,comdat
	.protected	_ZN4vllm24act_and_mul_quant_kernelIfTnPFT_RKS1_EXadL_ZNS_11silu_kernelIfEES1_S3_EEN3c1015Float8_e4m3fnuzEEEvPT1_PS2_PKfi ; -- Begin function _ZN4vllm24act_and_mul_quant_kernelIfTnPFT_RKS1_EXadL_ZNS_11silu_kernelIfEES1_S3_EEN3c1015Float8_e4m3fnuzEEEvPT1_PS2_PKfi
	.globl	_ZN4vllm24act_and_mul_quant_kernelIfTnPFT_RKS1_EXadL_ZNS_11silu_kernelIfEES1_S3_EEN3c1015Float8_e4m3fnuzEEEvPT1_PS2_PKfi
	.p2align	8
	.type	_ZN4vllm24act_and_mul_quant_kernelIfTnPFT_RKS1_EXadL_ZNS_11silu_kernelIfEES1_S3_EEN3c1015Float8_e4m3fnuzEEEvPT1_PS2_PKfi,@function
_ZN4vllm24act_and_mul_quant_kernelIfTnPFT_RKS1_EXadL_ZNS_11silu_kernelIfEES1_S3_EEN3c1015Float8_e4m3fnuzEEEvPT1_PS2_PKfi: ; @_ZN4vllm24act_and_mul_quant_kernelIfTnPFT_RKS1_EXadL_ZNS_11silu_kernelIfEES1_S3_EEN3c1015Float8_e4m3fnuzEEEvPT1_PS2_PKfi
; %bb.0:
	s_load_dword s4, s[0:1], 0x24
	s_load_dword s2, s[0:1], 0x18
	s_waitcnt lgkmcnt(0)
	s_abs_i32 s0, s4
	v_cvt_f32_u32_e32 v1, s0
	s_sub_i32 s5, 0, s0
	s_add_i32 s1, s2, s4
	s_add_i32 s1, s1, -1
	v_rcp_iflag_f32_e32 v1, v1
	s_xor_b32 s4, s1, s4
	s_abs_i32 s1, s1
	s_ashr_i32 s4, s4, 31
	v_mul_f32_e32 v1, 0x4f7ffffe, v1
	v_cvt_u32_f32_e32 v1, v1
	s_nop 0
	v_readfirstlane_b32 s6, v1
	s_mul_i32 s5, s5, s6
	s_mul_hi_u32 s5, s6, s5
	s_add_i32 s6, s6, s5
	s_mul_hi_u32 s5, s1, s6
	s_mul_i32 s6, s5, s0
	s_sub_i32 s1, s1, s6
	s_add_i32 s7, s5, 1
	s_sub_i32 s6, s1, s0
	s_cmp_ge_u32 s1, s0
	s_cselect_b32 s5, s7, s5
	s_cselect_b32 s1, s6, s1
	s_add_i32 s6, s5, 1
	s_cmp_ge_u32 s1, s0
	s_cselect_b32 s0, s6, s5
	s_xor_b32 s0, s0, s4
	s_sub_i32 s0, s0, s4
	s_and_b32 s1, s0, 3
	s_cmp_eq_u32 s1, 0
	s_cbranch_scc1 .LBB1_2
; %bb.1:
	s_ashr_i32 s1, s0, 31
	s_lshr_b32 s1, s1, 30
	s_add_i32 s0, s0, s1
	s_and_b32 s0, s0, -4
	s_add_i32 s0, s0, 4
.LBB1_2:
	s_mul_i32 s3, s0, s3
	s_add_i32 s0, s3, s0
	s_min_i32 s4, s0, s2
	s_abs_i32 s0, s4
	v_cvt_f32_u32_e32 v1, s0
	s_sub_i32 s1, 0, s0
	v_rcp_iflag_f32_e32 v1, v1
	s_nop 0
	v_mul_f32_e32 v1, 0x4f7ffffe, v1
	v_cvt_u32_f32_e32 v1, v1
	s_nop 0
	v_readfirstlane_b32 s2, v1
	s_mul_i32 s1, s1, s2
	s_mul_hi_u32 s1, s2, s1
	s_add_i32 s2, s2, s1
	s_lshr_b32 s1, s2, 30
	s_mul_i32 s1, s1, s0
	s_sub_i32 s1, 4, s1
	s_sub_i32 s2, s1, s0
	s_cmp_ge_u32 s1, s0
	s_cselect_b32 s1, s2, s1
	s_sub_i32 s2, s1, s0
	s_cmp_ge_u32 s1, s0
	s_cselect_b32 s5, s2, s1
	s_cmp_eq_u32 s5, 0
	s_cselect_b64 s[0:1], -1, 0
	v_cndmask_b32_e64 v1, 0, 1, s[0:1]
	s_ashr_i32 s0, s3, 31
	s_lshr_b32 s0, s0, 30
	s_add_i32 s3, s3, s0
	s_ashr_i32 s0, s3, 2
	v_add_u32_e32 v2, s0, v0
	v_cmp_ge_i32_e32 vcc, v2, v1
	s_mov_b64 s[2:3], 0
	s_and_saveexec_b64 s[0:1], vcc
	s_xor_b64 s[0:1], exec, s[0:1]
	s_cbranch_execnz .LBB1_6
; %bb.3:
	s_andn2_saveexec_b64 s[0:1], s[0:1]
	s_cbranch_execnz .LBB1_8
.LBB1_4:
	s_or_b64 exec, exec, s[0:1]
	s_and_saveexec_b64 s[0:1], s[2:3]
	s_cbranch_execnz .LBB1_9
.LBB1_5:
	s_endpgm
.LBB1_6:
	s_sub_i32 s2, 4, s5
	v_add_u32_e32 v0, s2, v0
	v_max_i32_e32 v0, s2, v0
	v_cmp_gt_i32_e32 vcc, s4, v0
	s_mov_b64 s[2:3], 0
	s_and_saveexec_b64 s[4:5], vcc
	s_cbranch_execnz .LBB1_10
.LBB1_7:
	s_or_b64 exec, exec, s[4:5]
	s_and_b64 s[2:3], s[2:3], exec
	s_andn2_saveexec_b64 s[0:1], s[0:1]
	s_cbranch_execz .LBB1_4
.LBB1_8:
	s_or_b64 s[2:3], s[2:3], exec
	s_trap 2
	s_or_b64 exec, exec, s[0:1]
	s_and_saveexec_b64 s[0:1], s[2:3]
	s_cbranch_execz .LBB1_5
.LBB1_9:
	; divergent unreachable
	s_endpgm
.LBB1_10:
	s_mov_b64 s[2:3], exec
	s_trap 2
	s_branch .LBB1_7
	.section	.rodata,"a",@progbits
	.p2align	6, 0x0
	.amdhsa_kernel _ZN4vllm24act_and_mul_quant_kernelIfTnPFT_RKS1_EXadL_ZNS_11silu_kernelIfEES1_S3_EEN3c1015Float8_e4m3fnuzEEEvPT1_PS2_PKfi
		.amdhsa_group_segment_fixed_size 0
		.amdhsa_private_segment_fixed_size 0
		.amdhsa_kernarg_size 288
		.amdhsa_user_sgpr_count 2
		.amdhsa_user_sgpr_dispatch_ptr 0
		.amdhsa_user_sgpr_queue_ptr 0
		.amdhsa_user_sgpr_kernarg_segment_ptr 1
		.amdhsa_user_sgpr_dispatch_id 0
		.amdhsa_user_sgpr_kernarg_preload_length 0
		.amdhsa_user_sgpr_kernarg_preload_offset 0
		.amdhsa_user_sgpr_private_segment_size 0
		.amdhsa_uses_dynamic_stack 0
		.amdhsa_enable_private_segment 0
		.amdhsa_system_sgpr_workgroup_id_x 1
		.amdhsa_system_sgpr_workgroup_id_y 1
		.amdhsa_system_sgpr_workgroup_id_z 0
		.amdhsa_system_sgpr_workgroup_info 0
		.amdhsa_system_vgpr_workitem_id 0
		.amdhsa_next_free_vgpr 3
		.amdhsa_next_free_sgpr 8
		.amdhsa_accum_offset 4
		.amdhsa_reserve_vcc 1
		.amdhsa_float_round_mode_32 0
		.amdhsa_float_round_mode_16_64 0
		.amdhsa_float_denorm_mode_32 3
		.amdhsa_float_denorm_mode_16_64 3
		.amdhsa_dx10_clamp 1
		.amdhsa_ieee_mode 1
		.amdhsa_fp16_overflow 0
		.amdhsa_tg_split 0
		.amdhsa_exception_fp_ieee_invalid_op 0
		.amdhsa_exception_fp_denorm_src 0
		.amdhsa_exception_fp_ieee_div_zero 0
		.amdhsa_exception_fp_ieee_overflow 0
		.amdhsa_exception_fp_ieee_underflow 0
		.amdhsa_exception_fp_ieee_inexact 0
		.amdhsa_exception_int_div_zero 0
	.end_amdhsa_kernel
	.section	.text._ZN4vllm24act_and_mul_quant_kernelIfTnPFT_RKS1_EXadL_ZNS_11silu_kernelIfEES1_S3_EEN3c1015Float8_e4m3fnuzEEEvPT1_PS2_PKfi,"axG",@progbits,_ZN4vllm24act_and_mul_quant_kernelIfTnPFT_RKS1_EXadL_ZNS_11silu_kernelIfEES1_S3_EEN3c1015Float8_e4m3fnuzEEEvPT1_PS2_PKfi,comdat
.Lfunc_end1:
	.size	_ZN4vllm24act_and_mul_quant_kernelIfTnPFT_RKS1_EXadL_ZNS_11silu_kernelIfEES1_S3_EEN3c1015Float8_e4m3fnuzEEEvPT1_PS2_PKfi, .Lfunc_end1-_ZN4vllm24act_and_mul_quant_kernelIfTnPFT_RKS1_EXadL_ZNS_11silu_kernelIfEES1_S3_EEN3c1015Float8_e4m3fnuzEEEvPT1_PS2_PKfi
                                        ; -- End function
	.set _ZN4vllm24act_and_mul_quant_kernelIfTnPFT_RKS1_EXadL_ZNS_11silu_kernelIfEES1_S3_EEN3c1015Float8_e4m3fnuzEEEvPT1_PS2_PKfi.num_vgpr, 3
	.set _ZN4vllm24act_and_mul_quant_kernelIfTnPFT_RKS1_EXadL_ZNS_11silu_kernelIfEES1_S3_EEN3c1015Float8_e4m3fnuzEEEvPT1_PS2_PKfi.num_agpr, 0
	.set _ZN4vllm24act_and_mul_quant_kernelIfTnPFT_RKS1_EXadL_ZNS_11silu_kernelIfEES1_S3_EEN3c1015Float8_e4m3fnuzEEEvPT1_PS2_PKfi.numbered_sgpr, 8
	.set _ZN4vllm24act_and_mul_quant_kernelIfTnPFT_RKS1_EXadL_ZNS_11silu_kernelIfEES1_S3_EEN3c1015Float8_e4m3fnuzEEEvPT1_PS2_PKfi.num_named_barrier, 0
	.set _ZN4vllm24act_and_mul_quant_kernelIfTnPFT_RKS1_EXadL_ZNS_11silu_kernelIfEES1_S3_EEN3c1015Float8_e4m3fnuzEEEvPT1_PS2_PKfi.private_seg_size, 0
	.set _ZN4vllm24act_and_mul_quant_kernelIfTnPFT_RKS1_EXadL_ZNS_11silu_kernelIfEES1_S3_EEN3c1015Float8_e4m3fnuzEEEvPT1_PS2_PKfi.uses_vcc, 1
	.set _ZN4vllm24act_and_mul_quant_kernelIfTnPFT_RKS1_EXadL_ZNS_11silu_kernelIfEES1_S3_EEN3c1015Float8_e4m3fnuzEEEvPT1_PS2_PKfi.uses_flat_scratch, 0
	.set _ZN4vllm24act_and_mul_quant_kernelIfTnPFT_RKS1_EXadL_ZNS_11silu_kernelIfEES1_S3_EEN3c1015Float8_e4m3fnuzEEEvPT1_PS2_PKfi.has_dyn_sized_stack, 0
	.set _ZN4vllm24act_and_mul_quant_kernelIfTnPFT_RKS1_EXadL_ZNS_11silu_kernelIfEES1_S3_EEN3c1015Float8_e4m3fnuzEEEvPT1_PS2_PKfi.has_recursion, 0
	.set _ZN4vllm24act_and_mul_quant_kernelIfTnPFT_RKS1_EXadL_ZNS_11silu_kernelIfEES1_S3_EEN3c1015Float8_e4m3fnuzEEEvPT1_PS2_PKfi.has_indirect_call, 0
	.section	.AMDGPU.csdata,"",@progbits
; Kernel info:
; codeLenInByte = 432
; TotalNumSgprs: 14
; NumVgprs: 3
; NumAgprs: 0
; TotalNumVgprs: 3
; ScratchSize: 0
; MemoryBound: 0
; FloatMode: 240
; IeeeMode: 1
; LDSByteSize: 0 bytes/workgroup (compile time only)
; SGPRBlocks: 1
; VGPRBlocks: 0
; NumSGPRsForWavesPerEU: 14
; NumVGPRsForWavesPerEU: 3
; AccumOffset: 4
; Occupancy: 8
; WaveLimiterHint : 0
; COMPUTE_PGM_RSRC2:SCRATCH_EN: 0
; COMPUTE_PGM_RSRC2:USER_SGPR: 2
; COMPUTE_PGM_RSRC2:TRAP_HANDLER: 0
; COMPUTE_PGM_RSRC2:TGID_X_EN: 1
; COMPUTE_PGM_RSRC2:TGID_Y_EN: 1
; COMPUTE_PGM_RSRC2:TGID_Z_EN: 0
; COMPUTE_PGM_RSRC2:TIDIG_COMP_CNT: 0
; COMPUTE_PGM_RSRC3_GFX90A:ACCUM_OFFSET: 0
; COMPUTE_PGM_RSRC3_GFX90A:TG_SPLIT: 0
	.section	.text._ZN4vllm24act_and_mul_quant_kernelIN3c104HalfETnPFT_RKS3_EXadL_ZNS_11silu_kernelIS2_EES3_S5_EENS1_13Float8_e4m3fnEEEvPT1_PS4_PKfi,"axG",@progbits,_ZN4vllm24act_and_mul_quant_kernelIN3c104HalfETnPFT_RKS3_EXadL_ZNS_11silu_kernelIS2_EES3_S5_EENS1_13Float8_e4m3fnEEEvPT1_PS4_PKfi,comdat
	.protected	_ZN4vllm24act_and_mul_quant_kernelIN3c104HalfETnPFT_RKS3_EXadL_ZNS_11silu_kernelIS2_EES3_S5_EENS1_13Float8_e4m3fnEEEvPT1_PS4_PKfi ; -- Begin function _ZN4vllm24act_and_mul_quant_kernelIN3c104HalfETnPFT_RKS3_EXadL_ZNS_11silu_kernelIS2_EES3_S5_EENS1_13Float8_e4m3fnEEEvPT1_PS4_PKfi
	.globl	_ZN4vllm24act_and_mul_quant_kernelIN3c104HalfETnPFT_RKS3_EXadL_ZNS_11silu_kernelIS2_EES3_S5_EENS1_13Float8_e4m3fnEEEvPT1_PS4_PKfi
	.p2align	8
	.type	_ZN4vllm24act_and_mul_quant_kernelIN3c104HalfETnPFT_RKS3_EXadL_ZNS_11silu_kernelIS2_EES3_S5_EENS1_13Float8_e4m3fnEEEvPT1_PS4_PKfi,@function
_ZN4vllm24act_and_mul_quant_kernelIN3c104HalfETnPFT_RKS3_EXadL_ZNS_11silu_kernelIS2_EES3_S5_EENS1_13Float8_e4m3fnEEEvPT1_PS4_PKfi: ; @_ZN4vllm24act_and_mul_quant_kernelIN3c104HalfETnPFT_RKS3_EXadL_ZNS_11silu_kernelIS2_EES3_S5_EENS1_13Float8_e4m3fnEEEvPT1_PS4_PKfi
; %bb.0:
	s_mov_b32 s4, s3
	s_load_dword s3, s[0:1], 0x24
	s_add_u32 s22, s0, 32
	s_addc_u32 s23, s1, 0
	s_load_dword s33, s[0:1], 0x18
	s_load_dwordx2 s[24:25], s[0:1], 0x0
	s_waitcnt lgkmcnt(0)
	s_abs_i32 s5, s3
	v_cvt_f32_u32_e32 v1, s5
	s_sub_i32 s7, 0, s5
	s_add_i32 s6, s33, s3
	s_add_i32 s6, s6, -1
	v_rcp_iflag_f32_e32 v1, v1
	s_xor_b32 s3, s6, s3
	s_abs_i32 s6, s6
	s_ashr_i32 s3, s3, 31
	v_mul_f32_e32 v1, 0x4f7ffffe, v1
	v_cvt_u32_f32_e32 v1, v1
	s_nop 0
	v_readfirstlane_b32 s8, v1
	s_mul_i32 s7, s7, s8
	s_mul_hi_u32 s7, s8, s7
	s_add_i32 s8, s8, s7
	s_mul_hi_u32 s7, s6, s8
	s_mul_i32 s8, s7, s5
	s_sub_i32 s6, s6, s8
	s_add_i32 s8, s7, 1
	s_sub_i32 s9, s6, s5
	s_cmp_ge_u32 s6, s5
	s_cselect_b32 s7, s8, s7
	s_cselect_b32 s6, s9, s6
	s_add_i32 s8, s7, 1
	s_cmp_ge_u32 s6, s5
	s_cselect_b32 s5, s8, s7
	s_xor_b32 s5, s5, s3
	s_sub_i32 s5, s5, s3
	s_and_b32 s3, s5, 7
	s_cmp_eq_u32 s3, 0
	s_mov_b32 s3, 0
	s_cbranch_scc1 .LBB2_2
; %bb.1:
	s_ashr_i32 s6, s5, 31
	s_lshr_b32 s6, s6, 29
	s_add_i32 s5, s5, s6
	s_and_b32 s5, s5, -8
	s_add_i32 s5, s5, 8
.LBB2_2:
	s_mul_i32 s4, s5, s4
	s_add_i32 s5, s4, s5
	s_min_i32 s20, s5, s33
	s_abs_i32 s5, s20
	v_cvt_f32_u32_e32 v1, s5
	s_ashr_i32 s40, s33, 31
	s_load_dwordx4 s[16:19], s[0:1], 0x8
	s_mul_hi_u32 s0, s33, s2
	v_rcp_iflag_f32_e32 v1, v1
	s_mul_i32 s1, s40, s2
	s_add_i32 s27, s0, s1
	s_sub_i32 s0, 0, s5
	v_mul_f32_e32 v1, 0x4f7ffffe, v1
	v_cvt_u32_f32_e32 v1, v1
	s_waitcnt lgkmcnt(0)
	s_load_dword s6, s[18:19], 0x0
	s_mul_i32 s26, s33, s2
	v_readfirstlane_b32 s1, v1
	s_mul_i32 s0, s0, s1
	s_mul_hi_u32 s0, s1, s0
	s_add_i32 s1, s1, s0
	s_lshr_b32 s0, s1, 29
	s_mul_i32 s0, s0, s5
	s_sub_i32 s0, 8, s0
	s_sub_i32 s1, s0, s5
	s_cmp_ge_u32 s0, s5
	s_cselect_b32 s0, s1, s0
	s_sub_i32 s1, s0, s5
	s_cmp_ge_u32 s0, s5
	s_cselect_b32 s21, s1, s0
	s_cmp_eq_u32 s21, 0
	s_cselect_b64 s[0:1], -1, 0
	v_cndmask_b32_e64 v15, 0, 1, s[0:1]
	s_waitcnt lgkmcnt(0)
	v_div_scale_f32 v1, s[0:1], s6, s6, 1.0
	v_rcp_f32_e32 v2, v1
	s_ashr_i32 s5, s4, 31
	s_lshr_b32 s0, s5, 29
	s_add_i32 s4, s4, s0
	v_fma_f32 v3, -v1, v2, 1.0
	v_fmac_f32_e32 v2, v3, v2
	v_div_scale_f32 v3, vcc, 1.0, s6, 1.0
	v_mul_f32_e32 v4, v3, v2
	v_fma_f32 v5, -v1, v4, v3
	v_fmac_f32_e32 v4, v5, v2
	s_ashr_i32 s0, s4, 3
	v_fma_f32 v1, -v1, v4, v3
	v_div_fmas_f32 v1, v1, v2, v4
	v_add_u32_e32 v16, s0, v0
	v_div_fixup_f32 v14, v1, s6, 1.0
	v_cmp_lt_i32_e32 vcc, v16, v15
	s_and_saveexec_b64 s[18:19], vcc
	s_cbranch_execz .LBB2_5
; %bb.3:
	s_load_dword s4, s[22:23], 0xc
	s_ashr_i32 s1, s0, 31
	v_mov_b32_e32 v1, 0
	v_lshl_add_u64 v[2:3], s[0:1], 0, v[0:1]
	s_lshl_b64 s[0:1], s[2:3], 2
	s_or_b32 s0, s0, 2
	s_waitcnt lgkmcnt(0)
	s_and_b32 s41, s4, 0xffff
	s_mul_i32 s4, s0, s40
	s_mul_hi_u32 s5, s0, s33
	s_add_i32 s4, s5, s4
	s_mul_i32 s1, s1, s33
	s_lshl_b64 s[28:29], s[26:27], 2
	s_lshl_b32 s30, s41, 4
	s_add_i32 s35, s4, s1
	s_mul_i32 s34, s0, s33
	s_add_u32 s0, s24, s26
	s_mov_b32 s31, 0
	s_addc_u32 s1, s25, s27
	v_lshl_add_u64 v[10:11], v[2:3], 4, s[16:17]
	v_lshl_add_u64 v[12:13], v[2:3], 3, s[0:1]
	s_lshl_b32 s36, s41, 3
	s_mov_b32 s37, s31
	s_mov_b64 s[38:39], 0
	s_mov_b32 s42, 0x3fb8aa3b
	s_mov_b32 s43, 0x32a5705f
	s_mov_b32 s44, 0xc2ce8ed0
	s_mov_b32 s45, 0x42b17218
	s_mov_b32 s46, 0x7f800000
	v_mov_b32_e32 v1, 0x7f800000
	s_mov_b32 s47, 0x43e00000
	v_mov_b32_e32 v17, 0xc3e00000
	s_mov_b32 s48, 0x4020c0c
	v_mov_b32_e32 v18, 8
.LBB2_4:                                ; =>This Inner Loop Header: Depth=1
	v_lshl_add_u64 v[20:21], v[10:11], 0, s[28:29]
	v_lshl_add_u64 v[22:23], v[10:11], 0, s[34:35]
	global_load_dwordx4 v[6:9], v[20:21], off
	global_load_dwordx4 v[2:5], v[22:23], off
	v_add_u32_e32 v16, s41, v16
	v_lshl_add_u64 v[10:11], v[10:11], 0, s[30:31]
	s_waitcnt vmcnt(1)
	v_cvt_f32_f16_e64 v23, -v6
	v_cvt_f32_f16_sdwa v26, -v6 dst_sel:DWORD dst_unused:UNUSED_PAD src0_sel:WORD_1
	v_cvt_f32_f16_e64 v28, -v7
	v_cvt_f32_f16_sdwa v30, -v7 dst_sel:DWORD dst_unused:UNUSED_PAD src0_sel:WORD_1
	v_cvt_f32_f16_e64 v31, -v8
	v_cvt_f32_f16_e64 v33, -v9
	v_cvt_f32_f16_sdwa v32, -v8 dst_sel:DWORD dst_unused:UNUSED_PAD src0_sel:WORD_1
	v_cvt_f32_f16_sdwa v34, -v9 dst_sel:DWORD dst_unused:UNUSED_PAD src0_sel:WORD_1
	v_mul_f32_e32 v35, 0x3fb8aa3b, v23
	v_mul_f32_e32 v36, 0x3fb8aa3b, v26
	v_mul_f32_e32 v37, 0x3fb8aa3b, v28
	v_mul_f32_e32 v38, 0x3fb8aa3b, v30
	v_mul_f32_e32 v39, 0x3fb8aa3b, v31
	v_mul_f32_e32 v41, 0x3fb8aa3b, v33
	v_fma_mix_f32 v43, -v6, s42, -v35 op_sel_hi:[1,0,0]
	v_rndne_f32_e32 v44, v35
	v_mul_f32_e32 v40, 0x3fb8aa3b, v32
	v_fma_mix_f32 v45, -v6, s42, -v36 op_sel:[1,0,0] op_sel_hi:[1,0,0]
	v_rndne_f32_e32 v46, v36
	v_fma_mix_f32 v47, -v7, s42, -v37 op_sel_hi:[1,0,0]
	v_rndne_f32_e32 v48, v37
	v_fma_mix_f32 v49, -v7, s42, -v38 op_sel:[1,0,0] op_sel_hi:[1,0,0]
	v_rndne_f32_e32 v50, v38
	v_rndne_f32_e32 v52, v39
	v_fma_mix_f32 v55, -v9, s42, -v41 op_sel_hi:[1,0,0]
	v_rndne_f32_e32 v56, v41
	v_fma_mix_f32 v43, -v6, s43, v43 op_sel_hi:[1,0,0]
	v_sub_f32_e32 v35, v35, v44
	v_cvt_f32_f16_e32 v19, v6
	v_cvt_f32_f16_sdwa v20, v6 dst_sel:DWORD dst_unused:UNUSED_PAD src0_sel:WORD_1
	v_cvt_f32_f16_e32 v21, v7
	v_cvt_f32_f16_sdwa v22, v7 dst_sel:DWORD dst_unused:UNUSED_PAD src0_sel:WORD_1
	v_fma_mix_f32 v51, -v8, s42, -v39 op_sel_hi:[1,0,0]
	v_fma_mix_f32 v53, -v8, s42, -v40 op_sel:[1,0,0] op_sel_hi:[1,0,0]
	v_rndne_f32_e32 v54, v40
	v_fma_mix_f32 v6, -v6, s43, v45 op_sel:[1,0,0] op_sel_hi:[1,0,0]
	v_sub_f32_e32 v36, v36, v46
	v_cvt_i32_f32_e32 v45, v46
	v_fma_mix_f32 v46, -v7, s43, v47 op_sel_hi:[1,0,0]
	v_sub_f32_e32 v37, v37, v48
	v_cvt_i32_f32_e32 v47, v48
	v_fma_mix_f32 v7, -v7, s43, v49 op_sel:[1,0,0] op_sel_hi:[1,0,0]
	v_sub_f32_e32 v38, v38, v50
	v_cvt_i32_f32_e32 v48, v50
	v_sub_f32_e32 v39, v39, v52
	v_cvt_i32_f32_e32 v50, v52
	v_fma_mix_f32 v52, -v9, s43, v55 op_sel_hi:[1,0,0]
	v_sub_f32_e32 v41, v41, v56
	v_add_f32_e32 v35, v35, v43
	v_cvt_f32_f16_e32 v24, v8
	v_cvt_f32_f16_sdwa v25, v8 dst_sel:DWORD dst_unused:UNUSED_PAD src0_sel:WORD_1
	v_mul_f32_e32 v42, 0x3fb8aa3b, v34
	v_cvt_i32_f32_e32 v44, v44
	v_fma_mix_f32 v49, -v8, s43, v51 op_sel_hi:[1,0,0]
	v_fma_mix_f32 v8, -v8, s43, v53 op_sel:[1,0,0] op_sel_hi:[1,0,0]
	v_sub_f32_e32 v40, v40, v54
	v_add_f32_e32 v7, v38, v7
	v_add_f32_e32 v38, v41, v52
	v_exp_f32_e32 v35, v35
	v_fma_mix_f32 v57, -v9, s42, -v42 op_sel:[1,0,0] op_sel_hi:[1,0,0]
	v_rndne_f32_e32 v58, v42
	v_cvt_i32_f32_e32 v53, v56
	v_add_f32_e32 v6, v36, v6
	v_add_f32_e32 v36, v37, v46
	;; [unrolled: 1-line block ×3, first 2 shown]
	v_exp_f32_e32 v7, v7
	v_exp_f32_e32 v38, v38
	v_cvt_f32_f16_e32 v27, v9
	v_cvt_f32_f16_sdwa v29, v9 dst_sel:DWORD dst_unused:UNUSED_PAD src0_sel:WORD_1
	v_cvt_i32_f32_e32 v51, v54
	v_fma_mix_f32 v9, -v9, s43, v57 op_sel:[1,0,0] op_sel_hi:[1,0,0]
	v_sub_f32_e32 v42, v42, v58
	v_add_f32_e32 v37, v39, v49
	v_exp_f32_e32 v6, v6
	v_exp_f32_e32 v36, v36
	;; [unrolled: 1-line block ×3, first 2 shown]
	v_add_f32_e32 v9, v42, v9
	v_exp_f32_e32 v37, v37
	v_cvt_i32_f32_e32 v54, v58
	v_exp_f32_e32 v9, v9
	v_ldexp_f32 v35, v35, v44
	v_cmp_ngt_f32_e64 s[14:15], s44, v23
	v_ldexp_f32 v7, v7, v48
	v_cmp_ngt_f32_e64 s[4:5], s44, v30
	;; [unrolled: 2-line block ×3, first 2 shown]
	v_cndmask_b32_e64 v35, 0, v35, s[14:15]
	v_cmp_nlt_f32_e64 s[14:15], s45, v23
	v_ldexp_f32 v6, v6, v45
	v_cmp_ngt_f32_e32 vcc, s44, v26
	v_ldexp_f32 v36, v36, v47
	v_cmp_ngt_f32_e64 s[0:1], s44, v28
	v_ldexp_f32 v8, v8, v51
	v_cmp_ngt_f32_e64 s[8:9], s44, v32
	v_cndmask_b32_e64 v7, 0, v7, s[4:5]
	v_cmp_nlt_f32_e64 s[4:5], s45, v30
	v_cndmask_b32_e64 v30, 0, v38, s[10:11]
	v_cmp_nlt_f32_e64 s[10:11], s45, v33
	v_cndmask_b32_e64 v23, v1, v35, s[14:15]
	v_ldexp_f32 v37, v37, v50
	v_cmp_ngt_f32_e64 s[6:7], s44, v31
	v_cndmask_b32_e32 v6, 0, v6, vcc
	v_cmp_nlt_f32_e32 vcc, s45, v26
	v_cndmask_b32_e64 v26, 0, v36, s[0:1]
	v_cmp_nlt_f32_e64 s[0:1], s45, v28
	v_cndmask_b32_e64 v8, 0, v8, s[8:9]
	v_cmp_nlt_f32_e64 s[8:9], s45, v32
	v_cndmask_b32_e64 v30, v1, v30, s[10:11]
	v_add_f32_e32 v23, 1.0, v23
	v_ldexp_f32 v9, v9, v54
	v_cmp_ngt_f32_e64 s[12:13], s44, v34
	v_cndmask_b32_e64 v28, 0, v37, s[6:7]
	v_cmp_nlt_f32_e64 s[6:7], s45, v31
	v_cndmask_b32_e64 v26, v1, v26, s[0:1]
	v_cndmask_b32_e64 v8, v1, v8, s[8:9]
	v_add_f32_e32 v30, 1.0, v30
	v_div_scale_f32 v31, s[0:1], v23, v23, v19
	v_cndmask_b32_e64 v9, 0, v9, s[12:13]
	v_cmp_nlt_f32_e64 s[12:13], s45, v34
	v_cndmask_b32_e32 v6, v1, v6, vcc
	v_add_f32_e32 v8, 1.0, v8
	v_div_scale_f32 v43, s[0:1], v30, v30, v27
	v_rcp_f32_e32 v47, v31
	v_cndmask_b32_e64 v9, v1, v9, s[12:13]
	v_add_f32_e32 v6, 1.0, v6
	v_div_scale_f32 v41, s[0:1], v8, v8, v25
	v_rcp_f32_e32 v53, v43
	v_cndmask_b32_e64 v7, v1, v7, s[4:5]
	v_add_f32_e32 v26, 1.0, v26
	v_add_f32_e32 v9, 1.0, v9
	v_div_scale_f32 v33, s[0:1], v6, v6, v20
	v_rcp_f32_e32 v52, v41
	v_cndmask_b32_e64 v28, v1, v28, s[6:7]
	v_add_f32_e32 v7, 1.0, v7
	v_div_scale_f32 v35, s[0:1], v26, v26, v21
	v_div_scale_f32 v45, s[4:5], v9, v9, v29
	v_rcp_f32_e32 v48, v33
	v_add_f32_e32 v28, 1.0, v28
	v_div_scale_f32 v37, s[0:1], v7, v7, v22
	v_rcp_f32_e32 v49, v35
	v_rcp_f32_e32 v54, v45
	v_fma_f32 v55, -v31, v47, 1.0
	v_div_scale_f32 v32, vcc, v19, v23, v19
	v_div_scale_f32 v39, s[0:1], v28, v28, v24
	v_rcp_f32_e32 v50, v37
	v_fmac_f32_e32 v47, v55, v47
	v_fma_f32 v55, -v43, v53, 1.0
	v_rcp_f32_e32 v51, v39
	v_fma_f32 v60, -v41, v52, 1.0
	v_fmac_f32_e32 v53, v55, v53
	v_mul_f32_e32 v55, v32, v47
	v_fma_f32 v56, -v33, v48, 1.0
	v_fmac_f32_e32 v52, v60, v52
	v_fma_f32 v60, -v31, v55, v32
	v_div_scale_f32 v34, s[14:15], v20, v6, v20
	v_fma_f32 v57, -v35, v49, 1.0
	v_fmac_f32_e32 v48, v56, v48
	v_fma_f32 v56, -v45, v54, 1.0
	v_fmac_f32_e32 v55, v60, v47
	v_div_scale_f32 v36, s[12:13], v21, v26, v21
	v_fma_f32 v58, -v37, v50, 1.0
	v_fmac_f32_e32 v49, v57, v49
	v_fmac_f32_e32 v54, v56, v54
	v_mul_f32_e32 v56, v34, v48
	v_fma_f32 v31, -v31, v55, v32
	v_div_scale_f32 v38, s[10:11], v22, v7, v22
	v_fma_f32 v59, -v39, v51, 1.0
	v_fmac_f32_e32 v50, v58, v50
	v_mul_f32_e32 v57, v36, v49
	v_div_fmas_f32 v31, v31, v47, v55
	v_fma_f32 v55, -v33, v56, v34
	v_div_scale_f32 v40, s[8:9], v24, v28, v24
	v_fmac_f32_e32 v51, v59, v51
	v_mul_f32_e32 v58, v38, v50
	v_fmac_f32_e32 v56, v55, v48
	v_fma_f32 v55, -v35, v57, v36
	v_cmp_ge_i32_e32 vcc, v16, v15
	v_div_scale_f32 v42, s[6:7], v25, v8, v25
	v_mul_f32_e32 v59, v40, v51
	v_fmac_f32_e32 v57, v55, v49
	v_fma_f32 v55, -v37, v58, v38
	v_fma_f32 v33, -v33, v56, v34
	s_or_b64 s[38:39], vcc, s[38:39]
	s_mov_b64 vcc, s[14:15]
	v_div_scale_f32 v44, s[0:1], v27, v30, v27
	v_mul_f32_e32 v60, v42, v52
	v_fmac_f32_e32 v58, v55, v50
	v_fma_f32 v55, -v39, v59, v40
	v_fma_f32 v35, -v35, v57, v36
	v_div_fixup_f32 v19, v31, v23, v19
	v_div_fmas_f32 v23, v33, v48, v56
	s_mov_b64 vcc, s[12:13]
	v_div_scale_f32 v46, s[4:5], v29, v9, v29
	v_mul_f32_e32 v32, v44, v53
	v_fmac_f32_e32 v59, v55, v51
	v_fma_f32 v55, -v41, v60, v42
	v_fma_f32 v37, -v37, v58, v38
	v_cvt_f16_f32_e32 v19, v19
	v_div_fixup_f32 v6, v23, v6, v20
	v_div_fmas_f32 v20, v35, v49, v57
	s_mov_b64 vcc, s[10:11]
	v_mul_f32_e32 v47, v46, v54
	v_fmac_f32_e32 v60, v55, v52
	v_fma_f32 v55, -v43, v32, v44
	v_fma_f32 v39, -v39, v59, v40
	v_cvt_f16_f32_e32 v6, v6
	v_div_fixup_f32 v20, v20, v26, v21
	v_div_fmas_f32 v21, v37, v50, v58
	s_mov_b64 vcc, s[8:9]
	v_fmac_f32_e32 v32, v55, v53
	v_fma_f32 v55, -v45, v47, v46
	v_fma_f32 v41, -v41, v60, v42
	v_cvt_f16_f32_e32 v20, v20
	v_div_fixup_f32 v7, v21, v7, v22
	v_div_fmas_f32 v21, v39, v51, v59
	s_mov_b64 vcc, s[6:7]
	v_fmac_f32_e32 v47, v55, v54
	v_fma_f32 v43, -v43, v32, v44
	v_cvt_f16_f32_e32 v7, v7
	v_div_fixup_f32 v21, v21, v28, v24
	v_div_fmas_f32 v22, v41, v52, v60
	s_mov_b64 vcc, s[0:1]
	v_fma_f32 v45, -v45, v47, v46
	s_waitcnt vmcnt(0)
	v_mul_f16_e32 v19, v2, v19
	v_cvt_f16_f32_e32 v21, v21
	v_div_fixup_f32 v8, v22, v8, v25
	v_div_fmas_f32 v22, v43, v53, v32
	s_mov_b64 vcc, s[4:5]
	v_cvt_f32_f16_e32 v19, v19
	v_mul_f16_sdwa v2, v2, v6 dst_sel:DWORD dst_unused:UNUSED_PAD src0_sel:WORD_1 src1_sel:DWORD
	v_cvt_f16_f32_e32 v6, v8
	v_div_fixup_f32 v8, v22, v30, v27
	v_div_fmas_f32 v22, v45, v54, v47
	v_cvt_f32_f16_e32 v2, v2
	v_mul_f16_e32 v20, v3, v20
	v_cvt_f16_f32_e32 v8, v8
	v_div_fixup_f32 v9, v22, v9, v29
	v_cvt_f32_f16_e32 v20, v20
	v_mul_f16_sdwa v3, v3, v7 dst_sel:DWORD dst_unused:UNUSED_PAD src0_sel:WORD_1 src1_sel:DWORD
	v_cvt_f16_f32_e32 v7, v9
	v_cvt_f32_f16_e32 v3, v3
	v_mul_f16_e32 v9, v4, v21
	v_mul_f32_e32 v19, v14, v19
	v_cvt_f32_f16_e32 v9, v9
	v_mul_f16_sdwa v4, v4, v6 dst_sel:DWORD dst_unused:UNUSED_PAD src0_sel:WORD_1 src1_sel:DWORD
	v_min_f32_e32 v6, 0x43e00000, v19
	v_mul_f32_e32 v2, v14, v2
	v_cvt_f32_f16_e32 v4, v4
	v_mul_f16_e32 v8, v5, v8
	v_max_f32_e32 v6, 0xc3e00000, v6
	v_min_f32_e32 v2, 0x43e00000, v2
	v_mul_f32_e32 v19, v14, v20
	v_cvt_f32_f16_e32 v8, v8
	v_mul_f16_sdwa v5, v5, v7 dst_sel:DWORD dst_unused:UNUSED_PAD src0_sel:WORD_1 src1_sel:DWORD
	v_med3_f32 v7, v6, s47, v17
	v_max_f32_e32 v2, 0xc3e00000, v2
	v_min_f32_e32 v19, 0x43e00000, v19
	v_mul_f32_e32 v3, v14, v3
	v_cvt_f32_f16_e32 v5, v5
	v_cmp_nlg_f32_e64 vcc, |v6|, s46
	v_mov_b32_e32 v55, 0
	v_max_f32_e32 v19, 0xc3e00000, v19
	v_cndmask_b32_e32 v6, v7, v6, vcc
	v_med3_f32 v7, v2, s47, v17
	v_cmp_nlg_f32_e64 vcc, |v2|, s46
	v_min_f32_e32 v3, 0x43e00000, v3
	v_mul_f32_e32 v9, v14, v9
	v_mov_b32_e32 v34, 0
	v_cvt_pk_fp8_f32 v55, v6, v6
	v_cndmask_b32_e32 v2, v7, v2, vcc
	v_med3_f32 v6, v19, s47, v17
	v_cmp_nlg_f32_e64 vcc, |v19|, s46
	v_max_f32_e32 v3, 0xc3e00000, v3
	v_min_f32_e32 v7, 0x43e00000, v9
	v_mul_f32_e32 v4, v14, v4
	v_mov_b32_e32 v36, 0
	v_cvt_pk_fp8_f32 v34, v2, v2
	v_cndmask_b32_e32 v2, v6, v19, vcc
	v_med3_f32 v6, v3, s47, v17
	v_cmp_nlg_f32_e64 vcc, |v3|, s46
	v_max_f32_e32 v7, 0xc3e00000, v7
	;; [unrolled: 8-line block ×4, first 2 shown]
	v_min_f32_e32 v5, 0x43e00000, v5
	v_mov_b32_e32 v42, 0
	v_cvt_pk_fp8_f32 v40, v2, v2
	v_cndmask_b32_e32 v2, v3, v4, vcc
	v_med3_f32 v3, v6, s47, v17
	v_cmp_nlg_f32_e64 vcc, |v6|, s46
	v_max_f32_e32 v4, 0xc3e00000, v5
	v_mov_b32_e32 v44, 0
	v_cvt_pk_fp8_f32 v42, v2, v2
	v_cndmask_b32_e32 v2, v3, v6, vcc
	v_med3_f32 v3, v4, s47, v17
	v_cmp_nlg_f32_e64 vcc, |v4|, s46
	v_mov_b32_e32 v46, 0
	v_cvt_pk_fp8_f32 v44, v2, v2
	v_cndmask_b32_e32 v2, v3, v4, vcc
	v_cvt_pk_fp8_f32 v46, v2, v2
	v_lshlrev_b32_e32 v6, 8, v34
	v_lshlrev_b32_e32 v3, 16, v36
	v_and_b32_e32 v5, 0xff, v55
	v_and_b32_e32 v4, 0xff00, v6
	v_perm_b32 v2, v38, v3, s48
	v_or3_b32 v2, v2, v4, v5
	v_and_b32_e32 v5, 0xff, v44
	v_lshlrev_b32_e32 v6, 24, v46
	v_lshlrev_b32_e32 v5, 16, v5
	v_and_b32_e32 v3, 0xff, v40
	v_lshlrev_b32_sdwa v4, v18, v42 dst_sel:DWORD dst_unused:UNUSED_PAD src0_sel:DWORD src1_sel:BYTE_0
	v_or_b32_e32 v5, v6, v5
	v_or3_b32 v3, v5, v4, v3
	global_store_dwordx2 v[12:13], v[2:3], off
	v_lshl_add_u64 v[12:13], v[12:13], 0, s[36:37]
	s_andn2_b64 exec, exec, s[38:39]
	s_cbranch_execnz .LBB2_4
.LBB2_5:
	s_or_b64 exec, exec, s[18:19]
	s_sub_i32 s0, 8, s21
	s_cmp_gt_i32 s20, s0
	s_cbranch_scc0 .LBB2_9
; %bb.6:
	v_add_u32_e32 v0, s0, v0
	v_cmp_gt_u32_e32 vcc, s20, v0
	s_and_saveexec_b64 s[0:1], vcc
	s_cbranch_execz .LBB2_9
; %bb.7:
	s_load_dword s4, s[22:23], 0xc
	s_add_u32 s0, s24, s26
	s_addc_u32 s1, s25, s27
	s_lshl_b64 s[2:3], s[2:3], 2
	s_or_b32 s2, s2, 2
	v_mov_b32_e32 v1, 0
	s_mul_i32 s6, s2, s40
	s_mul_hi_u32 s7, s2, s33
	s_mov_b32 s21, 0
	s_waitcnt lgkmcnt(0)
	s_and_b32 s4, s4, 0xffff
	s_add_i32 s6, s7, s6
	s_mul_i32 s3, s3, s33
	v_lshlrev_b32_e32 v2, 1, v0
	v_mov_b32_e32 v3, v1
	s_mov_b32 s5, s21
	s_add_i32 s3, s6, s3
	s_mul_i32 s2, s2, s33
	v_lshl_add_u64 v[2:3], s[16:17], 0, v[2:3]
	s_lshl_b32 s6, s4, 1
	s_mov_b32 s7, s21
	s_lshl_b64 s[8:9], s[26:27], 2
	s_mov_b64 s[10:11], 0
	s_mov_b32 s12, 0x3fb8aa3b
	s_mov_b32 s13, 0x32a5705f
	;; [unrolled: 1-line block ×5, first 2 shown]
	v_mov_b32_e32 v4, 0x7f800000
	s_mov_b32 s17, 0x43e00000
	v_mov_b32_e32 v5, 0xc3e00000
.LBB2_8:                                ; =>This Inner Loop Header: Depth=1
	v_lshl_add_u64 v[6:7], v[2:3], 0, s[8:9]
	global_load_ushort v8, v[6:7], off
	v_lshl_add_u64 v[6:7], v[2:3], 0, s[2:3]
	global_load_ushort v6, v[6:7], off
	v_lshl_add_u64 v[2:3], v[2:3], 0, s[6:7]
	s_waitcnt vmcnt(1)
	v_cvt_f32_f16_e64 v7, -v8
	v_cvt_f32_f16_e32 v9, v8
	v_mul_f32_e32 v10, 0x3fb8aa3b, v7
	v_fma_mix_f32 v11, -v8, s12, -v10 op_sel_hi:[1,0,0]
	v_rndne_f32_e32 v12, v10
	v_fma_mix_f32 v8, -v8, s13, v11 op_sel_hi:[1,0,0]
	v_sub_f32_e32 v10, v10, v12
	v_add_f32_e32 v8, v10, v8
	v_cvt_i32_f32_e32 v11, v12
	v_exp_f32_e32 v8, v8
	v_cmp_ngt_f32_e32 vcc, s14, v7
	v_ldexp_f32 v8, v8, v11
	s_nop 0
	v_cndmask_b32_e32 v8, 0, v8, vcc
	v_cmp_nlt_f32_e32 vcc, s15, v7
	s_nop 1
	v_cndmask_b32_e32 v7, v4, v8, vcc
	v_add_f32_e32 v7, 1.0, v7
	v_div_scale_f32 v8, s[18:19], v7, v7, v9
	v_rcp_f32_e32 v10, v8
	v_div_scale_f32 v11, vcc, v9, v7, v9
	v_fma_f32 v12, -v8, v10, 1.0
	v_fmac_f32_e32 v10, v12, v10
	v_mul_f32_e32 v12, v11, v10
	v_fma_f32 v13, -v8, v12, v11
	v_fmac_f32_e32 v12, v13, v10
	v_fma_f32 v8, -v8, v12, v11
	v_div_fmas_f32 v8, v8, v10, v12
	v_div_fixup_f32 v7, v8, v7, v9
	v_cvt_f16_f32_e32 v7, v7
	v_mov_b32_e32 v8, 0
	s_waitcnt vmcnt(0)
	v_mul_f16_e32 v6, v6, v7
	v_cvt_f32_f16_e32 v9, v6
	v_lshl_add_u64 v[6:7], s[0:1], 0, v[0:1]
	v_lshl_add_u64 v[0:1], v[0:1], 0, s[4:5]
	v_mul_f32_e32 v9, v14, v9
	v_min_f32_e32 v9, 0x43e00000, v9
	v_max_f32_e32 v9, 0xc3e00000, v9
	v_med3_f32 v10, v9, s17, v5
	v_cmp_nlg_f32_e64 vcc, |v9|, s16
	s_nop 1
	v_cndmask_b32_e32 v9, v10, v9, vcc
	v_cvt_pk_fp8_f32 v8, v9, v9
	v_cmp_le_u64_e32 vcc, s[20:21], v[0:1]
	s_or_b64 s[10:11], vcc, s[10:11]
	global_store_byte v[6:7], v8, off
	s_andn2_b64 exec, exec, s[10:11]
	s_cbranch_execnz .LBB2_8
.LBB2_9:
	s_endpgm
	.section	.rodata,"a",@progbits
	.p2align	6, 0x0
	.amdhsa_kernel _ZN4vllm24act_and_mul_quant_kernelIN3c104HalfETnPFT_RKS3_EXadL_ZNS_11silu_kernelIS2_EES3_S5_EENS1_13Float8_e4m3fnEEEvPT1_PS4_PKfi
		.amdhsa_group_segment_fixed_size 0
		.amdhsa_private_segment_fixed_size 0
		.amdhsa_kernarg_size 288
		.amdhsa_user_sgpr_count 2
		.amdhsa_user_sgpr_dispatch_ptr 0
		.amdhsa_user_sgpr_queue_ptr 0
		.amdhsa_user_sgpr_kernarg_segment_ptr 1
		.amdhsa_user_sgpr_dispatch_id 0
		.amdhsa_user_sgpr_kernarg_preload_length 0
		.amdhsa_user_sgpr_kernarg_preload_offset 0
		.amdhsa_user_sgpr_private_segment_size 0
		.amdhsa_uses_dynamic_stack 0
		.amdhsa_enable_private_segment 0
		.amdhsa_system_sgpr_workgroup_id_x 1
		.amdhsa_system_sgpr_workgroup_id_y 1
		.amdhsa_system_sgpr_workgroup_id_z 0
		.amdhsa_system_sgpr_workgroup_info 0
		.amdhsa_system_vgpr_workitem_id 0
		.amdhsa_next_free_vgpr 61
		.amdhsa_next_free_sgpr 49
		.amdhsa_accum_offset 64
		.amdhsa_reserve_vcc 1
		.amdhsa_float_round_mode_32 0
		.amdhsa_float_round_mode_16_64 0
		.amdhsa_float_denorm_mode_32 3
		.amdhsa_float_denorm_mode_16_64 3
		.amdhsa_dx10_clamp 1
		.amdhsa_ieee_mode 1
		.amdhsa_fp16_overflow 0
		.amdhsa_tg_split 0
		.amdhsa_exception_fp_ieee_invalid_op 0
		.amdhsa_exception_fp_denorm_src 0
		.amdhsa_exception_fp_ieee_div_zero 0
		.amdhsa_exception_fp_ieee_overflow 0
		.amdhsa_exception_fp_ieee_underflow 0
		.amdhsa_exception_fp_ieee_inexact 0
		.amdhsa_exception_int_div_zero 0
	.end_amdhsa_kernel
	.section	.text._ZN4vllm24act_and_mul_quant_kernelIN3c104HalfETnPFT_RKS3_EXadL_ZNS_11silu_kernelIS2_EES3_S5_EENS1_13Float8_e4m3fnEEEvPT1_PS4_PKfi,"axG",@progbits,_ZN4vllm24act_and_mul_quant_kernelIN3c104HalfETnPFT_RKS3_EXadL_ZNS_11silu_kernelIS2_EES3_S5_EENS1_13Float8_e4m3fnEEEvPT1_PS4_PKfi,comdat
.Lfunc_end2:
	.size	_ZN4vllm24act_and_mul_quant_kernelIN3c104HalfETnPFT_RKS3_EXadL_ZNS_11silu_kernelIS2_EES3_S5_EENS1_13Float8_e4m3fnEEEvPT1_PS4_PKfi, .Lfunc_end2-_ZN4vllm24act_and_mul_quant_kernelIN3c104HalfETnPFT_RKS3_EXadL_ZNS_11silu_kernelIS2_EES3_S5_EENS1_13Float8_e4m3fnEEEvPT1_PS4_PKfi
                                        ; -- End function
	.set _ZN4vllm24act_and_mul_quant_kernelIN3c104HalfETnPFT_RKS3_EXadL_ZNS_11silu_kernelIS2_EES3_S5_EENS1_13Float8_e4m3fnEEEvPT1_PS4_PKfi.num_vgpr, 61
	.set _ZN4vllm24act_and_mul_quant_kernelIN3c104HalfETnPFT_RKS3_EXadL_ZNS_11silu_kernelIS2_EES3_S5_EENS1_13Float8_e4m3fnEEEvPT1_PS4_PKfi.num_agpr, 0
	.set _ZN4vllm24act_and_mul_quant_kernelIN3c104HalfETnPFT_RKS3_EXadL_ZNS_11silu_kernelIS2_EES3_S5_EENS1_13Float8_e4m3fnEEEvPT1_PS4_PKfi.numbered_sgpr, 49
	.set _ZN4vllm24act_and_mul_quant_kernelIN3c104HalfETnPFT_RKS3_EXadL_ZNS_11silu_kernelIS2_EES3_S5_EENS1_13Float8_e4m3fnEEEvPT1_PS4_PKfi.num_named_barrier, 0
	.set _ZN4vllm24act_and_mul_quant_kernelIN3c104HalfETnPFT_RKS3_EXadL_ZNS_11silu_kernelIS2_EES3_S5_EENS1_13Float8_e4m3fnEEEvPT1_PS4_PKfi.private_seg_size, 0
	.set _ZN4vllm24act_and_mul_quant_kernelIN3c104HalfETnPFT_RKS3_EXadL_ZNS_11silu_kernelIS2_EES3_S5_EENS1_13Float8_e4m3fnEEEvPT1_PS4_PKfi.uses_vcc, 1
	.set _ZN4vllm24act_and_mul_quant_kernelIN3c104HalfETnPFT_RKS3_EXadL_ZNS_11silu_kernelIS2_EES3_S5_EENS1_13Float8_e4m3fnEEEvPT1_PS4_PKfi.uses_flat_scratch, 0
	.set _ZN4vllm24act_and_mul_quant_kernelIN3c104HalfETnPFT_RKS3_EXadL_ZNS_11silu_kernelIS2_EES3_S5_EENS1_13Float8_e4m3fnEEEvPT1_PS4_PKfi.has_dyn_sized_stack, 0
	.set _ZN4vllm24act_and_mul_quant_kernelIN3c104HalfETnPFT_RKS3_EXadL_ZNS_11silu_kernelIS2_EES3_S5_EENS1_13Float8_e4m3fnEEEvPT1_PS4_PKfi.has_recursion, 0
	.set _ZN4vllm24act_and_mul_quant_kernelIN3c104HalfETnPFT_RKS3_EXadL_ZNS_11silu_kernelIS2_EES3_S5_EENS1_13Float8_e4m3fnEEEvPT1_PS4_PKfi.has_indirect_call, 0
	.section	.AMDGPU.csdata,"",@progbits
; Kernel info:
; codeLenInByte = 3268
; TotalNumSgprs: 55
; NumVgprs: 61
; NumAgprs: 0
; TotalNumVgprs: 61
; ScratchSize: 0
; MemoryBound: 0
; FloatMode: 240
; IeeeMode: 1
; LDSByteSize: 0 bytes/workgroup (compile time only)
; SGPRBlocks: 6
; VGPRBlocks: 7
; NumSGPRsForWavesPerEU: 55
; NumVGPRsForWavesPerEU: 61
; AccumOffset: 64
; Occupancy: 8
; WaveLimiterHint : 0
; COMPUTE_PGM_RSRC2:SCRATCH_EN: 0
; COMPUTE_PGM_RSRC2:USER_SGPR: 2
; COMPUTE_PGM_RSRC2:TRAP_HANDLER: 0
; COMPUTE_PGM_RSRC2:TGID_X_EN: 1
; COMPUTE_PGM_RSRC2:TGID_Y_EN: 1
; COMPUTE_PGM_RSRC2:TGID_Z_EN: 0
; COMPUTE_PGM_RSRC2:TIDIG_COMP_CNT: 0
; COMPUTE_PGM_RSRC3_GFX90A:ACCUM_OFFSET: 15
; COMPUTE_PGM_RSRC3_GFX90A:TG_SPLIT: 0
	.section	.text._ZN4vllm24act_and_mul_quant_kernelIN3c104HalfETnPFT_RKS3_EXadL_ZNS_11silu_kernelIS2_EES3_S5_EENS1_15Float8_e4m3fnuzEEEvPT1_PS4_PKfi,"axG",@progbits,_ZN4vllm24act_and_mul_quant_kernelIN3c104HalfETnPFT_RKS3_EXadL_ZNS_11silu_kernelIS2_EES3_S5_EENS1_15Float8_e4m3fnuzEEEvPT1_PS4_PKfi,comdat
	.protected	_ZN4vllm24act_and_mul_quant_kernelIN3c104HalfETnPFT_RKS3_EXadL_ZNS_11silu_kernelIS2_EES3_S5_EENS1_15Float8_e4m3fnuzEEEvPT1_PS4_PKfi ; -- Begin function _ZN4vllm24act_and_mul_quant_kernelIN3c104HalfETnPFT_RKS3_EXadL_ZNS_11silu_kernelIS2_EES3_S5_EENS1_15Float8_e4m3fnuzEEEvPT1_PS4_PKfi
	.globl	_ZN4vllm24act_and_mul_quant_kernelIN3c104HalfETnPFT_RKS3_EXadL_ZNS_11silu_kernelIS2_EES3_S5_EENS1_15Float8_e4m3fnuzEEEvPT1_PS4_PKfi
	.p2align	8
	.type	_ZN4vllm24act_and_mul_quant_kernelIN3c104HalfETnPFT_RKS3_EXadL_ZNS_11silu_kernelIS2_EES3_S5_EENS1_15Float8_e4m3fnuzEEEvPT1_PS4_PKfi,@function
_ZN4vllm24act_and_mul_quant_kernelIN3c104HalfETnPFT_RKS3_EXadL_ZNS_11silu_kernelIS2_EES3_S5_EENS1_15Float8_e4m3fnuzEEEvPT1_PS4_PKfi: ; @_ZN4vllm24act_and_mul_quant_kernelIN3c104HalfETnPFT_RKS3_EXadL_ZNS_11silu_kernelIS2_EES3_S5_EENS1_15Float8_e4m3fnuzEEEvPT1_PS4_PKfi
; %bb.0:
	s_load_dword s4, s[0:1], 0x24
	s_load_dword s2, s[0:1], 0x18
	s_waitcnt lgkmcnt(0)
	s_abs_i32 s0, s4
	v_cvt_f32_u32_e32 v1, s0
	s_sub_i32 s5, 0, s0
	s_add_i32 s1, s2, s4
	s_add_i32 s1, s1, -1
	v_rcp_iflag_f32_e32 v1, v1
	s_xor_b32 s4, s1, s4
	s_abs_i32 s1, s1
	s_ashr_i32 s4, s4, 31
	v_mul_f32_e32 v1, 0x4f7ffffe, v1
	v_cvt_u32_f32_e32 v1, v1
	s_nop 0
	v_readfirstlane_b32 s6, v1
	s_mul_i32 s5, s5, s6
	s_mul_hi_u32 s5, s6, s5
	s_add_i32 s6, s6, s5
	s_mul_hi_u32 s5, s1, s6
	s_mul_i32 s6, s5, s0
	s_sub_i32 s1, s1, s6
	s_add_i32 s7, s5, 1
	s_sub_i32 s6, s1, s0
	s_cmp_ge_u32 s1, s0
	s_cselect_b32 s5, s7, s5
	s_cselect_b32 s1, s6, s1
	s_add_i32 s6, s5, 1
	s_cmp_ge_u32 s1, s0
	s_cselect_b32 s0, s6, s5
	s_xor_b32 s0, s0, s4
	s_sub_i32 s0, s0, s4
	s_and_b32 s1, s0, 7
	s_cmp_eq_u32 s1, 0
	s_cbranch_scc1 .LBB3_2
; %bb.1:
	s_ashr_i32 s1, s0, 31
	s_lshr_b32 s1, s1, 29
	s_add_i32 s0, s0, s1
	s_and_b32 s0, s0, -8
	s_add_i32 s0, s0, 8
.LBB3_2:
	s_mul_i32 s3, s0, s3
	s_add_i32 s0, s3, s0
	s_min_i32 s4, s0, s2
	s_abs_i32 s0, s4
	v_cvt_f32_u32_e32 v1, s0
	s_sub_i32 s1, 0, s0
	v_rcp_iflag_f32_e32 v1, v1
	s_nop 0
	v_mul_f32_e32 v1, 0x4f7ffffe, v1
	v_cvt_u32_f32_e32 v1, v1
	s_nop 0
	v_readfirstlane_b32 s2, v1
	s_mul_i32 s1, s1, s2
	s_mul_hi_u32 s1, s2, s1
	s_add_i32 s2, s2, s1
	s_lshr_b32 s1, s2, 29
	s_mul_i32 s1, s1, s0
	s_sub_i32 s1, 8, s1
	s_sub_i32 s2, s1, s0
	s_cmp_ge_u32 s1, s0
	s_cselect_b32 s1, s2, s1
	s_sub_i32 s2, s1, s0
	s_cmp_ge_u32 s1, s0
	s_cselect_b32 s5, s2, s1
	s_cmp_eq_u32 s5, 0
	s_cselect_b64 s[0:1], -1, 0
	v_cndmask_b32_e64 v1, 0, 1, s[0:1]
	s_ashr_i32 s0, s3, 31
	s_lshr_b32 s0, s0, 29
	s_add_i32 s3, s3, s0
	s_ashr_i32 s0, s3, 3
	v_add_u32_e32 v2, s0, v0
	v_cmp_ge_i32_e32 vcc, v2, v1
	s_mov_b64 s[2:3], 0
	s_and_saveexec_b64 s[0:1], vcc
	s_xor_b64 s[0:1], exec, s[0:1]
	s_cbranch_execnz .LBB3_6
; %bb.3:
	s_andn2_saveexec_b64 s[0:1], s[0:1]
	s_cbranch_execnz .LBB3_8
.LBB3_4:
	s_or_b64 exec, exec, s[0:1]
	s_and_saveexec_b64 s[0:1], s[2:3]
	s_cbranch_execnz .LBB3_9
.LBB3_5:
	s_endpgm
.LBB3_6:
	s_sub_i32 s2, 8, s5
	v_add_u32_e32 v0, s2, v0
	v_max_i32_e32 v0, s2, v0
	v_cmp_gt_i32_e32 vcc, s4, v0
	s_mov_b64 s[2:3], 0
	s_and_saveexec_b64 s[4:5], vcc
	s_cbranch_execnz .LBB3_10
.LBB3_7:
	s_or_b64 exec, exec, s[4:5]
	s_and_b64 s[2:3], s[2:3], exec
	s_andn2_saveexec_b64 s[0:1], s[0:1]
	s_cbranch_execz .LBB3_4
.LBB3_8:
	s_or_b64 s[2:3], s[2:3], exec
	s_trap 2
	s_or_b64 exec, exec, s[0:1]
	s_and_saveexec_b64 s[0:1], s[2:3]
	s_cbranch_execz .LBB3_5
.LBB3_9:
	; divergent unreachable
	s_endpgm
.LBB3_10:
	s_mov_b64 s[2:3], exec
	s_trap 2
	s_branch .LBB3_7
	.section	.rodata,"a",@progbits
	.p2align	6, 0x0
	.amdhsa_kernel _ZN4vllm24act_and_mul_quant_kernelIN3c104HalfETnPFT_RKS3_EXadL_ZNS_11silu_kernelIS2_EES3_S5_EENS1_15Float8_e4m3fnuzEEEvPT1_PS4_PKfi
		.amdhsa_group_segment_fixed_size 0
		.amdhsa_private_segment_fixed_size 0
		.amdhsa_kernarg_size 288
		.amdhsa_user_sgpr_count 2
		.amdhsa_user_sgpr_dispatch_ptr 0
		.amdhsa_user_sgpr_queue_ptr 0
		.amdhsa_user_sgpr_kernarg_segment_ptr 1
		.amdhsa_user_sgpr_dispatch_id 0
		.amdhsa_user_sgpr_kernarg_preload_length 0
		.amdhsa_user_sgpr_kernarg_preload_offset 0
		.amdhsa_user_sgpr_private_segment_size 0
		.amdhsa_uses_dynamic_stack 0
		.amdhsa_enable_private_segment 0
		.amdhsa_system_sgpr_workgroup_id_x 1
		.amdhsa_system_sgpr_workgroup_id_y 1
		.amdhsa_system_sgpr_workgroup_id_z 0
		.amdhsa_system_sgpr_workgroup_info 0
		.amdhsa_system_vgpr_workitem_id 0
		.amdhsa_next_free_vgpr 3
		.amdhsa_next_free_sgpr 8
		.amdhsa_accum_offset 4
		.amdhsa_reserve_vcc 1
		.amdhsa_float_round_mode_32 0
		.amdhsa_float_round_mode_16_64 0
		.amdhsa_float_denorm_mode_32 3
		.amdhsa_float_denorm_mode_16_64 3
		.amdhsa_dx10_clamp 1
		.amdhsa_ieee_mode 1
		.amdhsa_fp16_overflow 0
		.amdhsa_tg_split 0
		.amdhsa_exception_fp_ieee_invalid_op 0
		.amdhsa_exception_fp_denorm_src 0
		.amdhsa_exception_fp_ieee_div_zero 0
		.amdhsa_exception_fp_ieee_overflow 0
		.amdhsa_exception_fp_ieee_underflow 0
		.amdhsa_exception_fp_ieee_inexact 0
		.amdhsa_exception_int_div_zero 0
	.end_amdhsa_kernel
	.section	.text._ZN4vllm24act_and_mul_quant_kernelIN3c104HalfETnPFT_RKS3_EXadL_ZNS_11silu_kernelIS2_EES3_S5_EENS1_15Float8_e4m3fnuzEEEvPT1_PS4_PKfi,"axG",@progbits,_ZN4vllm24act_and_mul_quant_kernelIN3c104HalfETnPFT_RKS3_EXadL_ZNS_11silu_kernelIS2_EES3_S5_EENS1_15Float8_e4m3fnuzEEEvPT1_PS4_PKfi,comdat
.Lfunc_end3:
	.size	_ZN4vllm24act_and_mul_quant_kernelIN3c104HalfETnPFT_RKS3_EXadL_ZNS_11silu_kernelIS2_EES3_S5_EENS1_15Float8_e4m3fnuzEEEvPT1_PS4_PKfi, .Lfunc_end3-_ZN4vllm24act_and_mul_quant_kernelIN3c104HalfETnPFT_RKS3_EXadL_ZNS_11silu_kernelIS2_EES3_S5_EENS1_15Float8_e4m3fnuzEEEvPT1_PS4_PKfi
                                        ; -- End function
	.set _ZN4vllm24act_and_mul_quant_kernelIN3c104HalfETnPFT_RKS3_EXadL_ZNS_11silu_kernelIS2_EES3_S5_EENS1_15Float8_e4m3fnuzEEEvPT1_PS4_PKfi.num_vgpr, 3
	.set _ZN4vllm24act_and_mul_quant_kernelIN3c104HalfETnPFT_RKS3_EXadL_ZNS_11silu_kernelIS2_EES3_S5_EENS1_15Float8_e4m3fnuzEEEvPT1_PS4_PKfi.num_agpr, 0
	.set _ZN4vllm24act_and_mul_quant_kernelIN3c104HalfETnPFT_RKS3_EXadL_ZNS_11silu_kernelIS2_EES3_S5_EENS1_15Float8_e4m3fnuzEEEvPT1_PS4_PKfi.numbered_sgpr, 8
	.set _ZN4vllm24act_and_mul_quant_kernelIN3c104HalfETnPFT_RKS3_EXadL_ZNS_11silu_kernelIS2_EES3_S5_EENS1_15Float8_e4m3fnuzEEEvPT1_PS4_PKfi.num_named_barrier, 0
	.set _ZN4vllm24act_and_mul_quant_kernelIN3c104HalfETnPFT_RKS3_EXadL_ZNS_11silu_kernelIS2_EES3_S5_EENS1_15Float8_e4m3fnuzEEEvPT1_PS4_PKfi.private_seg_size, 0
	.set _ZN4vllm24act_and_mul_quant_kernelIN3c104HalfETnPFT_RKS3_EXadL_ZNS_11silu_kernelIS2_EES3_S5_EENS1_15Float8_e4m3fnuzEEEvPT1_PS4_PKfi.uses_vcc, 1
	.set _ZN4vllm24act_and_mul_quant_kernelIN3c104HalfETnPFT_RKS3_EXadL_ZNS_11silu_kernelIS2_EES3_S5_EENS1_15Float8_e4m3fnuzEEEvPT1_PS4_PKfi.uses_flat_scratch, 0
	.set _ZN4vllm24act_and_mul_quant_kernelIN3c104HalfETnPFT_RKS3_EXadL_ZNS_11silu_kernelIS2_EES3_S5_EENS1_15Float8_e4m3fnuzEEEvPT1_PS4_PKfi.has_dyn_sized_stack, 0
	.set _ZN4vllm24act_and_mul_quant_kernelIN3c104HalfETnPFT_RKS3_EXadL_ZNS_11silu_kernelIS2_EES3_S5_EENS1_15Float8_e4m3fnuzEEEvPT1_PS4_PKfi.has_recursion, 0
	.set _ZN4vllm24act_and_mul_quant_kernelIN3c104HalfETnPFT_RKS3_EXadL_ZNS_11silu_kernelIS2_EES3_S5_EENS1_15Float8_e4m3fnuzEEEvPT1_PS4_PKfi.has_indirect_call, 0
	.section	.AMDGPU.csdata,"",@progbits
; Kernel info:
; codeLenInByte = 432
; TotalNumSgprs: 14
; NumVgprs: 3
; NumAgprs: 0
; TotalNumVgprs: 3
; ScratchSize: 0
; MemoryBound: 0
; FloatMode: 240
; IeeeMode: 1
; LDSByteSize: 0 bytes/workgroup (compile time only)
; SGPRBlocks: 1
; VGPRBlocks: 0
; NumSGPRsForWavesPerEU: 14
; NumVGPRsForWavesPerEU: 3
; AccumOffset: 4
; Occupancy: 8
; WaveLimiterHint : 0
; COMPUTE_PGM_RSRC2:SCRATCH_EN: 0
; COMPUTE_PGM_RSRC2:USER_SGPR: 2
; COMPUTE_PGM_RSRC2:TRAP_HANDLER: 0
; COMPUTE_PGM_RSRC2:TGID_X_EN: 1
; COMPUTE_PGM_RSRC2:TGID_Y_EN: 1
; COMPUTE_PGM_RSRC2:TGID_Z_EN: 0
; COMPUTE_PGM_RSRC2:TIDIG_COMP_CNT: 0
; COMPUTE_PGM_RSRC3_GFX90A:ACCUM_OFFSET: 0
; COMPUTE_PGM_RSRC3_GFX90A:TG_SPLIT: 0
	.section	.text._ZN4vllm24act_and_mul_quant_kernelIN3c108BFloat16ETnPFT_RKS3_EXadL_ZNS_11silu_kernelIS2_EES3_S5_EENS1_13Float8_e4m3fnEEEvPT1_PS4_PKfi,"axG",@progbits,_ZN4vllm24act_and_mul_quant_kernelIN3c108BFloat16ETnPFT_RKS3_EXadL_ZNS_11silu_kernelIS2_EES3_S5_EENS1_13Float8_e4m3fnEEEvPT1_PS4_PKfi,comdat
	.protected	_ZN4vllm24act_and_mul_quant_kernelIN3c108BFloat16ETnPFT_RKS3_EXadL_ZNS_11silu_kernelIS2_EES3_S5_EENS1_13Float8_e4m3fnEEEvPT1_PS4_PKfi ; -- Begin function _ZN4vllm24act_and_mul_quant_kernelIN3c108BFloat16ETnPFT_RKS3_EXadL_ZNS_11silu_kernelIS2_EES3_S5_EENS1_13Float8_e4m3fnEEEvPT1_PS4_PKfi
	.globl	_ZN4vllm24act_and_mul_quant_kernelIN3c108BFloat16ETnPFT_RKS3_EXadL_ZNS_11silu_kernelIS2_EES3_S5_EENS1_13Float8_e4m3fnEEEvPT1_PS4_PKfi
	.p2align	8
	.type	_ZN4vllm24act_and_mul_quant_kernelIN3c108BFloat16ETnPFT_RKS3_EXadL_ZNS_11silu_kernelIS2_EES3_S5_EENS1_13Float8_e4m3fnEEEvPT1_PS4_PKfi,@function
_ZN4vllm24act_and_mul_quant_kernelIN3c108BFloat16ETnPFT_RKS3_EXadL_ZNS_11silu_kernelIS2_EES3_S5_EENS1_13Float8_e4m3fnEEEvPT1_PS4_PKfi: ; @_ZN4vllm24act_and_mul_quant_kernelIN3c108BFloat16ETnPFT_RKS3_EXadL_ZNS_11silu_kernelIS2_EES3_S5_EENS1_13Float8_e4m3fnEEEvPT1_PS4_PKfi
; %bb.0:
	s_mov_b32 s4, s3
	s_load_dword s3, s[0:1], 0x24
	s_add_u32 s22, s0, 32
	s_addc_u32 s23, s1, 0
	s_load_dword s33, s[0:1], 0x18
	s_load_dwordx2 s[24:25], s[0:1], 0x0
	s_waitcnt lgkmcnt(0)
	s_abs_i32 s5, s3
	v_cvt_f32_u32_e32 v1, s5
	s_sub_i32 s7, 0, s5
	s_add_i32 s6, s33, s3
	s_add_i32 s6, s6, -1
	v_rcp_iflag_f32_e32 v1, v1
	s_xor_b32 s3, s6, s3
	s_abs_i32 s6, s6
	s_ashr_i32 s3, s3, 31
	v_mul_f32_e32 v1, 0x4f7ffffe, v1
	v_cvt_u32_f32_e32 v1, v1
	s_nop 0
	v_readfirstlane_b32 s8, v1
	s_mul_i32 s7, s7, s8
	s_mul_hi_u32 s7, s8, s7
	s_add_i32 s8, s8, s7
	s_mul_hi_u32 s7, s6, s8
	s_mul_i32 s8, s7, s5
	s_sub_i32 s6, s6, s8
	s_add_i32 s8, s7, 1
	s_sub_i32 s9, s6, s5
	s_cmp_ge_u32 s6, s5
	s_cselect_b32 s7, s8, s7
	s_cselect_b32 s6, s9, s6
	s_add_i32 s8, s7, 1
	s_cmp_ge_u32 s6, s5
	s_cselect_b32 s5, s8, s7
	s_xor_b32 s5, s5, s3
	s_sub_i32 s5, s5, s3
	s_and_b32 s3, s5, 7
	s_cmp_eq_u32 s3, 0
	s_mov_b32 s3, 0
	s_cbranch_scc1 .LBB4_2
; %bb.1:
	s_ashr_i32 s6, s5, 31
	s_lshr_b32 s6, s6, 29
	s_add_i32 s5, s5, s6
	s_and_b32 s5, s5, -8
	s_add_i32 s5, s5, 8
.LBB4_2:
	s_mul_i32 s4, s5, s4
	s_add_i32 s5, s4, s5
	s_min_i32 s20, s5, s33
	s_abs_i32 s5, s20
	v_cvt_f32_u32_e32 v1, s5
	s_ashr_i32 s40, s33, 31
	s_load_dwordx4 s[16:19], s[0:1], 0x8
	s_mul_hi_u32 s0, s33, s2
	v_rcp_iflag_f32_e32 v1, v1
	s_mul_i32 s1, s40, s2
	s_add_i32 s27, s0, s1
	s_sub_i32 s0, 0, s5
	v_mul_f32_e32 v1, 0x4f7ffffe, v1
	v_cvt_u32_f32_e32 v1, v1
	s_waitcnt lgkmcnt(0)
	s_load_dword s6, s[18:19], 0x0
	s_mul_i32 s26, s33, s2
	v_readfirstlane_b32 s1, v1
	s_mul_i32 s0, s0, s1
	s_mul_hi_u32 s0, s1, s0
	s_add_i32 s1, s1, s0
	s_lshr_b32 s0, s1, 29
	s_mul_i32 s0, s0, s5
	s_sub_i32 s0, 8, s0
	s_sub_i32 s1, s0, s5
	s_cmp_ge_u32 s0, s5
	s_cselect_b32 s0, s1, s0
	s_sub_i32 s1, s0, s5
	s_cmp_ge_u32 s0, s5
	s_cselect_b32 s21, s1, s0
	s_cmp_eq_u32 s21, 0
	s_cselect_b64 s[0:1], -1, 0
	v_cndmask_b32_e64 v21, 0, 1, s[0:1]
	s_waitcnt lgkmcnt(0)
	v_div_scale_f32 v1, s[0:1], s6, s6, 1.0
	v_rcp_f32_e32 v2, v1
	s_ashr_i32 s5, s4, 31
	s_lshr_b32 s0, s5, 29
	s_add_i32 s4, s4, s0
	v_fma_f32 v3, -v1, v2, 1.0
	v_fmac_f32_e32 v2, v3, v2
	v_div_scale_f32 v3, vcc, 1.0, s6, 1.0
	v_mul_f32_e32 v4, v3, v2
	v_fma_f32 v5, -v1, v4, v3
	v_fmac_f32_e32 v4, v5, v2
	s_ashr_i32 s0, s4, 3
	v_fma_f32 v1, -v1, v4, v3
	v_div_fmas_f32 v1, v1, v2, v4
	v_add_u32_e32 v22, s0, v0
	v_div_fixup_f32 v20, v1, s6, 1.0
	v_cmp_lt_i32_e32 vcc, v22, v21
	s_and_saveexec_b64 s[18:19], vcc
	s_cbranch_execz .LBB4_5
; %bb.3:
	s_load_dword s4, s[22:23], 0xc
	s_ashr_i32 s1, s0, 31
	v_mov_b32_e32 v1, 0
	v_lshl_add_u64 v[2:3], s[0:1], 0, v[0:1]
	s_lshl_b64 s[0:1], s[2:3], 2
	s_or_b32 s0, s0, 2
	s_waitcnt lgkmcnt(0)
	s_and_b32 s41, s4, 0xffff
	s_mul_i32 s4, s0, s40
	s_mul_hi_u32 s5, s0, s33
	s_add_i32 s4, s5, s4
	s_mul_i32 s1, s1, s33
	s_lshl_b64 s[28:29], s[26:27], 2
	s_lshl_b32 s30, s41, 4
	s_add_i32 s35, s4, s1
	s_mul_i32 s34, s0, s33
	s_add_u32 s0, s24, s26
	s_mov_b32 s31, 0
	s_addc_u32 s1, s25, s27
	v_lshl_add_u64 v[10:11], v[2:3], 4, s[16:17]
	v_lshl_add_u64 v[12:13], v[2:3], 3, s[0:1]
	s_lshl_b32 s36, s41, 3
	s_mov_b32 s37, s31
	s_mov_b64 s[38:39], 0
	s_movk_i32 s42, 0x7fff
	v_mov_b32_e32 v1, 0x7fc00000
	s_mov_b32 s43, 0x3fb8aa3b
	s_mov_b32 s44, 0xc2ce8ed0
	;; [unrolled: 1-line block ×4, first 2 shown]
	v_mov_b32_e32 v23, 0x7f800000
	s_mov_b32 s47, 0x43e00000
	v_mov_b32_e32 v24, 0xc3e00000
	s_mov_b32 s48, 0x4020c0c
	v_mov_b32_e32 v25, 1
	v_mov_b32_e32 v26, 8
.LBB4_4:                                ; =>This Inner Loop Header: Depth=1
	v_lshl_add_u64 v[14:15], v[10:11], 0, s[28:29]
	v_lshl_add_u64 v[16:17], v[10:11], 0, s[34:35]
	global_load_dwordx4 v[6:9], v[14:15], off
	global_load_dwordx4 v[2:5], v[16:17], off
	v_add_u32_e32 v22, s41, v22
	v_mov_b32_e32 v27, 0
	v_lshl_add_u64 v[10:11], v[10:11], 0, s[30:31]
	s_waitcnt vmcnt(1)
	v_and_b32_e32 v30, 0xffff0000, v6
	v_lshlrev_b32_e32 v31, 16, v6
	s_waitcnt vmcnt(0)
	v_and_b32_e32 v15, 0xffff0000, v2
	v_lshlrev_b32_e32 v14, 16, v2
	v_and_b32_e32 v28, 0xffff0000, v7
	v_lshlrev_b32_e32 v29, 16, v7
	;; [unrolled: 2-line block ×7, first 2 shown]
	v_xor_b32_e32 v4, 0x80000000, v31
	v_xor_b32_e32 v5, 0x80000000, v30
	;; [unrolled: 1-line block ×6, first 2 shown]
	v_bfe_u32 v38, v4, 16, 1
	v_bfe_u32 v39, v5, 16, 1
	v_xor_b32_e32 v36, 0x80000000, v35
	v_xor_b32_e32 v37, 0x80000000, v34
	v_bfe_u32 v40, v16, 16, 1
	v_bfe_u32 v41, v17, 16, 1
	;; [unrolled: 1-line block ×4, first 2 shown]
	v_add3_u32 v4, v4, v38, s42
	v_add3_u32 v5, v5, v39, s42
	v_bfe_u32 v44, v36, 16, 1
	v_bfe_u32 v45, v37, 16, 1
	v_add3_u32 v16, v16, v40, s42
	v_add3_u32 v17, v17, v41, s42
	;; [unrolled: 1-line block ×4, first 2 shown]
	v_and_b32_e32 v4, 0xffff0000, v4
	v_and_b32_e32 v5, 0xffff0000, v5
	v_cmp_o_f32_e32 vcc, v30, v30
	v_cmp_o_f32_e64 s[14:15], v31, v31
	v_add3_u32 v36, v36, v44, s42
	v_add3_u32 v37, v37, v45, s42
	v_and_b32_e32 v16, 0xffff0000, v16
	v_cmp_o_f32_e64 s[0:1], v29, v29
	v_and_b32_e32 v17, 0xffff0000, v17
	v_cmp_o_f32_e64 s[4:5], v28, v28
	;; [unrolled: 2-line block ×4, first 2 shown]
	v_cndmask_b32_e64 v4, v1, v4, s[14:15]
	v_cndmask_b32_e32 v5, v1, v5, vcc
	v_and_b32_e32 v36, 0xffff0000, v36
	v_cmp_o_f32_e64 s[10:11], v35, v35
	v_and_b32_e32 v37, 0xffff0000, v37
	v_cmp_o_f32_e64 s[12:13], v34, v34
	v_cndmask_b32_e64 v16, v1, v16, s[0:1]
	v_cndmask_b32_e64 v17, v1, v17, s[4:5]
	;; [unrolled: 1-line block ×4, first 2 shown]
	v_mul_f32_e32 v38, 0x3fb8aa3b, v4
	v_mul_f32_e32 v39, 0x3fb8aa3b, v5
	v_cndmask_b32_e64 v36, v1, v36, s[10:11]
	v_cndmask_b32_e64 v37, v1, v37, s[12:13]
	v_mul_f32_e32 v40, 0x3fb8aa3b, v16
	v_mul_f32_e32 v41, 0x3fb8aa3b, v17
	;; [unrolled: 1-line block ×4, first 2 shown]
	v_fma_f32 v46, v4, s43, -v38
	v_rndne_f32_e32 v47, v38
	v_fma_f32 v48, v5, s43, -v39
	v_rndne_f32_e32 v49, v39
	v_mul_f32_e32 v44, 0x3fb8aa3b, v36
	v_mul_f32_e32 v45, 0x3fb8aa3b, v37
	v_fma_f32 v50, v16, s43, -v40
	v_rndne_f32_e32 v51, v40
	v_fma_f32 v52, v17, s43, -v41
	v_rndne_f32_e32 v53, v41
	;; [unrolled: 2-line block ×4, first 2 shown]
	v_fmac_f32_e32 v46, 0x32a5705f, v4
	v_sub_f32_e32 v38, v38, v47
	v_fmac_f32_e32 v48, 0x32a5705f, v5
	v_sub_f32_e32 v39, v39, v49
	v_fma_f32 v58, v36, s43, -v44
	v_rndne_f32_e32 v59, v44
	v_fma_f32 v60, v37, s43, -v45
	v_add_f32_e32 v38, v38, v46
	v_rndne_f32_e32 v46, v45
	v_fmac_f32_e32 v50, 0x32a5705f, v16
	v_sub_f32_e32 v40, v40, v51
	v_fmac_f32_e32 v52, 0x32a5705f, v17
	v_sub_f32_e32 v41, v41, v53
	;; [unrolled: 2-line block ×4, first 2 shown]
	v_add_f32_e32 v39, v39, v48
	v_cvt_i32_f32_e32 v47, v47
	v_cvt_i32_f32_e32 v49, v49
	v_fmac_f32_e32 v58, 0x32a5705f, v36
	v_sub_f32_e32 v44, v44, v59
	v_fmac_f32_e32 v60, 0x32a5705f, v37
	v_sub_f32_e32 v45, v45, v46
	v_add_f32_e32 v40, v40, v50
	v_add_f32_e32 v41, v41, v52
	v_add_f32_e32 v42, v42, v54
	v_add_f32_e32 v43, v43, v56
	v_exp_f32_e32 v38, v38
	v_exp_f32_e32 v39, v39
	v_cvt_i32_f32_e32 v51, v51
	v_cvt_i32_f32_e32 v53, v53
	;; [unrolled: 1-line block ×4, first 2 shown]
	v_add_f32_e32 v44, v44, v58
	v_add_f32_e32 v45, v45, v60
	v_exp_f32_e32 v40, v40
	v_exp_f32_e32 v41, v41
	;; [unrolled: 1-line block ×4, first 2 shown]
	v_cvt_i32_f32_e32 v59, v59
	v_cvt_i32_f32_e32 v46, v46
	v_exp_f32_e32 v44, v44
	v_exp_f32_e32 v45, v45
	v_ldexp_f32 v38, v38, v47
	v_ldexp_f32 v39, v39, v49
	v_cmp_ngt_f32_e32 vcc, s44, v5
	v_cmp_ngt_f32_e64 s[14:15], s44, v4
	v_ldexp_f32 v40, v40, v51
	v_cmp_ngt_f32_e64 s[0:1], s44, v16
	v_ldexp_f32 v41, v41, v53
	;; [unrolled: 2-line block ×4, first 2 shown]
	v_cmp_ngt_f32_e64 s[8:9], s44, v19
	v_cndmask_b32_e64 v38, 0, v38, s[14:15]
	v_cndmask_b32_e32 v39, 0, v39, vcc
	v_cmp_nlt_f32_e32 vcc, s45, v5
	v_cmp_nlt_f32_e64 s[14:15], s45, v4
	v_ldexp_f32 v44, v44, v59
	v_cmp_ngt_f32_e64 s[10:11], s44, v36
	v_ldexp_f32 v45, v45, v46
	v_cmp_ngt_f32_e64 s[12:13], s44, v37
	v_cndmask_b32_e64 v40, 0, v40, s[0:1]
	v_cmp_nlt_f32_e64 s[0:1], s45, v16
	v_cndmask_b32_e64 v41, 0, v41, s[4:5]
	v_cmp_nlt_f32_e64 s[4:5], s45, v17
	;; [unrolled: 2-line block ×4, first 2 shown]
	v_cndmask_b32_e64 v4, v23, v38, s[14:15]
	v_cndmask_b32_e32 v5, v23, v39, vcc
	v_cndmask_b32_e64 v19, 0, v44, s[10:11]
	v_cmp_nlt_f32_e64 s[10:11], s45, v36
	v_cndmask_b32_e64 v43, 0, v45, s[12:13]
	v_cmp_nlt_f32_e64 s[12:13], s45, v37
	v_cndmask_b32_e64 v16, v23, v40, s[0:1]
	v_cndmask_b32_e64 v17, v23, v41, s[4:5]
	;; [unrolled: 1-line block ×4, first 2 shown]
	v_pk_add_f32 v[40:41], v[4:5], 1.0 op_sel_hi:[1,0]
	v_cndmask_b32_e64 v38, v23, v19, s[10:11]
	v_cndmask_b32_e64 v39, v23, v43, s[12:13]
	v_pk_add_f32 v[18:19], v[16:17], 1.0 op_sel_hi:[1,0]
	v_pk_add_f32 v[16:17], v[36:37], 1.0 op_sel_hi:[1,0]
	v_div_scale_f32 v36, s[0:1], v40, v40, v31
	v_pk_add_f32 v[4:5], v[38:39], 1.0 op_sel_hi:[1,0]
	v_div_scale_f32 v38, s[0:1], v41, v41, v30
	v_div_scale_f32 v42, s[0:1], v18, v18, v29
	v_rcp_f32_e32 v51, v36
	v_div_scale_f32 v44, s[0:1], v19, v19, v28
	v_div_scale_f32 v46, s[0:1], v16, v16, v33
	v_rcp_f32_e32 v52, v38
	v_rcp_f32_e32 v53, v42
	v_div_scale_f32 v48, s[8:9], v17, v17, v32
	v_div_scale_f32 v49, s[8:9], v4, v4, v35
	v_rcp_f32_e32 v54, v44
	v_rcp_f32_e32 v55, v46
	v_div_scale_f32 v50, s[8:9], v5, v5, v34
	v_rcp_f32_e32 v56, v48
	v_rcp_f32_e32 v57, v49
	;; [unrolled: 1-line block ×3, first 2 shown]
	v_fma_f32 v59, -v36, v51, 1.0
	v_fma_f32 v60, -v38, v52, 1.0
	v_fmac_f32_e32 v51, v59, v51
	v_fma_f32 v59, -v42, v53, 1.0
	v_fmac_f32_e32 v52, v60, v52
	;; [unrolled: 2-line block ×3, first 2 shown]
	v_fma_f32 v59, -v46, v55, 1.0
	v_div_scale_f32 v37, vcc, v31, v40, v31
	v_fmac_f32_e32 v54, v60, v54
	v_fma_f32 v60, -v48, v56, 1.0
	v_fmac_f32_e32 v55, v59, v55
	v_fma_f32 v59, -v49, v57, 1.0
	;; [unrolled: 2-line block ×3, first 2 shown]
	v_fmac_f32_e32 v57, v59, v57
	v_mul_f32_e32 v59, v37, v51
	v_fmac_f32_e32 v58, v60, v58
	v_fma_f32 v60, -v36, v59, v37
	v_fmac_f32_e32 v59, v60, v51
	v_div_scale_f32 v39, s[14:15], v30, v41, v30
	v_fma_f32 v36, -v36, v59, v37
	v_div_fmas_f32 v36, v36, v51, v59
	v_mul_f32_e32 v51, v39, v52
	v_fma_f32 v59, -v38, v51, v39
	v_fmac_f32_e32 v51, v59, v52
	v_div_scale_f32 v43, s[6:7], v29, v18, v29
	v_fma_f32 v38, -v38, v51, v39
	s_mov_b64 vcc, s[14:15]
	v_div_scale_f32 v45, s[4:5], v28, v19, v28
	v_mul_f32_e32 v39, v43, v53
	v_div_fmas_f32 v38, v38, v52, v51
	v_div_scale_f32 v47, s[0:1], v33, v16, v33
	v_mul_f32_e32 v51, v45, v54
	v_div_fixup_f32 v30, v38, v41, v30
	v_fma_f32 v41, -v42, v39, v43
	v_div_scale_f32 v60, s[12:13], v32, v17, v32
	v_mul_f32_e32 v52, v47, v55
	v_fmac_f32_e32 v39, v41, v53
	v_fma_f32 v41, -v44, v51, v45
	v_cmp_ge_i32_e32 vcc, v22, v21
	v_div_fixup_f32 v31, v36, v40, v31
	v_mul_f32_e32 v36, v60, v56
	v_fmac_f32_e32 v51, v41, v54
	v_fma_f32 v41, -v46, v52, v47
	v_fma_f32 v42, -v42, v39, v43
	s_or_b64 s[38:39], vcc, s[38:39]
	s_mov_b64 vcc, s[6:7]
	v_div_scale_f32 v37, s[10:11], v35, v4, v35
	v_fmac_f32_e32 v52, v41, v55
	v_fma_f32 v41, -v48, v36, v60
	v_fma_f32 v44, -v44, v51, v45
	v_div_fmas_f32 v39, v42, v53, v39
	s_mov_b64 vcc, s[4:5]
	v_div_scale_f32 v59, s[8:9], v34, v5, v34
	v_mul_f32_e32 v38, v37, v57
	v_fmac_f32_e32 v36, v41, v56
	v_fma_f32 v46, -v46, v52, v47
	v_and_b32_sdwa v42, v31, v25 dst_sel:DWORD dst_unused:UNUSED_PAD src0_sel:WORD_1 src1_sel:DWORD
	v_and_b32_sdwa v53, v30, v25 dst_sel:DWORD dst_unused:UNUSED_PAD src0_sel:WORD_1 src1_sel:DWORD
	v_div_fixup_f32 v29, v39, v18, v29
	v_div_fmas_f32 v18, v44, v54, v51
	s_mov_b64 vcc, s[0:1]
	v_mul_f32_e32 v40, v59, v58
	v_fma_f32 v41, -v49, v38, v37
	v_fma_f32 v48, -v48, v36, v60
	v_add3_u32 v42, v31, v42, s42
	v_add3_u32 v39, v30, v53, s42
	v_cmp_o_f32_e64 s[4:5], v31, v31
	v_div_fmas_f32 v31, v46, v55, v52
	s_mov_b64 vcc, s[12:13]
	v_fmac_f32_e32 v38, v41, v57
	v_fma_f32 v41, -v50, v40, v59
	v_and_b32_e32 v42, 0xffff0000, v42
	v_div_fixup_f32 v28, v18, v19, v28
	v_and_b32_sdwa v19, v29, v25 dst_sel:DWORD dst_unused:UNUSED_PAD src0_sel:WORD_1 src1_sel:DWORD
	v_and_b32_e32 v39, 0xffff0000, v39
	v_div_fixup_f32 v31, v31, v16, v33
	v_div_fmas_f32 v16, v48, v56, v36
	v_cmp_o_f32_e32 vcc, v30, v30
	v_fmac_f32_e32 v40, v41, v58
	v_fma_f32 v37, -v49, v38, v37
	v_cndmask_b32_e64 v18, v1, v42, s[4:5]
	v_and_b32_sdwa v42, v28, v25 dst_sel:DWORD dst_unused:UNUSED_PAD src0_sel:WORD_1 src1_sel:DWORD
	v_add3_u32 v44, v29, v19, s42
	v_cndmask_b32_e32 v19, v1, v39, vcc
	s_mov_b64 vcc, s[10:11]
	v_fma_f32 v50, -v50, v40, v59
	v_add3_u32 v30, v28, v42, s42
	v_cmp_o_f32_e64 s[0:1], v29, v29
	v_div_fixup_f32 v29, v16, v17, v32
	v_and_b32_sdwa v17, v31, v25 dst_sel:DWORD dst_unused:UNUSED_PAD src0_sel:WORD_1 src1_sel:DWORD
	v_div_fmas_f32 v32, v37, v57, v38
	s_mov_b64 vcc, s[8:9]
	v_and_b32_e32 v33, 0xffff0000, v44
	v_pk_mul_f32 v[14:15], v[18:19], v[14:15]
	v_and_b32_e32 v18, 0xffff0000, v30
	v_cmp_o_f32_e64 s[4:5], v28, v28
	v_and_b32_sdwa v19, v29, v25 dst_sel:DWORD dst_unused:UNUSED_PAD src0_sel:WORD_1 src1_sel:DWORD
	v_add3_u32 v28, v31, v17, s42
	v_div_fixup_f32 v30, v32, v4, v35
	v_div_fmas_f32 v4, v50, v58, v40
	v_cndmask_b32_e64 v16, v1, v33, s[0:1]
	v_bfe_u32 v32, v14, 16, 1
	v_bfe_u32 v33, v15, 16, 1
	v_cndmask_b32_e64 v17, v1, v18, s[4:5]
	v_add3_u32 v18, v29, v19, s42
	v_and_b32_e32 v19, 0xffff0000, v28
	v_div_fixup_f32 v28, v4, v5, v34
	v_cmp_o_f32_e32 vcc, v31, v31
	v_and_b32_sdwa v31, v30, v25 dst_sel:DWORD dst_unused:UNUSED_PAD src0_sel:WORD_1 src1_sel:DWORD
	v_add3_u32 v32, v14, v32, s42
	v_add3_u32 v33, v15, v33, s42
	v_pk_mul_f32 v[4:5], v[16:17], v[6:7]
	v_and_b32_e32 v7, 0xffff0000, v18
	v_cmp_o_f32_e64 s[0:1], v29, v29
	v_and_b32_sdwa v16, v28, v25 dst_sel:DWORD dst_unused:UNUSED_PAD src0_sel:WORD_1 src1_sel:DWORD
	v_cndmask_b32_e32 v6, v1, v19, vcc
	v_add3_u32 v17, v30, v31, s42
	v_and_b32_e32 v18, 0xffff0000, v32
	v_and_b32_e32 v19, 0xffff0000, v33
	v_cmp_o_f32_e32 vcc, v15, v15
	v_bfe_u32 v29, v5, 16, 1
	v_cndmask_b32_e64 v7, v1, v7, s[0:1]
	v_add3_u32 v16, v28, v16, s42
	v_cmp_o_f32_e64 s[4:5], v14, v14
	v_bfe_u32 v15, v4, 16, 1
	v_and_b32_e32 v17, 0xffff0000, v17
	v_cmp_o_f32_e64 s[0:1], v30, v30
	v_cndmask_b32_e64 v14, v1, v18, s[4:5]
	v_cndmask_b32_e32 v18, v1, v19, vcc
	v_add3_u32 v19, v5, v29, s42
	v_pk_mul_f32 v[2:3], v[6:7], v[2:3]
	v_and_b32_e32 v7, 0xffff0000, v16
	v_cmp_o_f32_e32 vcc, v28, v28
	v_add3_u32 v15, v4, v15, s42
	v_cndmask_b32_e64 v6, v1, v17, s[0:1]
	v_mul_f32_e32 v14, v20, v14
	v_cmp_o_f32_e64 s[0:1], v4, v4
	v_and_b32_e32 v4, 0xffff0000, v19
	v_cmp_o_f32_e64 s[4:5], v5, v5
	v_bfe_u32 v5, v2, 16, 1
	v_bfe_u32 v17, v3, 16, 1
	v_cndmask_b32_e32 v7, v1, v7, vcc
	v_mul_f32_e32 v16, v20, v18
	v_and_b32_e32 v15, 0xffff0000, v15
	v_min_f32_e32 v14, 0x43e00000, v14
	v_cndmask_b32_e64 v18, v1, v4, s[4:5]
	v_add3_u32 v19, v2, v5, s42
	v_add3_u32 v17, v3, v17, s42
	v_pk_mul_f32 v[4:5], v[6:7], v[8:9]
	v_min_f32_e32 v16, 0x43e00000, v16
	v_cndmask_b32_e64 v15, v1, v15, s[0:1]
	v_max_f32_e32 v6, 0xc3e00000, v14
	v_mul_f32_e32 v9, v20, v18
	v_and_b32_e32 v14, 0xffff0000, v19
	v_cmp_o_f32_e32 vcc, v2, v2
	v_and_b32_e32 v2, 0xffff0000, v17
	v_cmp_o_f32_e64 s[0:1], v3, v3
	v_bfe_u32 v3, v4, 16, 1
	v_max_f32_e32 v7, 0xc3e00000, v16
	v_mul_f32_e32 v8, v20, v15
	v_bfe_u32 v15, v5, 16, 1
	v_med3_f32 v16, v6, s47, v24
	v_min_f32_e32 v9, 0x43e00000, v9
	v_cndmask_b32_e32 v14, v1, v14, vcc
	v_cndmask_b32_e64 v2, v1, v2, s[0:1]
	v_add3_u32 v3, v4, v3, s42
	v_cmp_nlg_f32_e64 vcc, |v6|, s46
	v_med3_f32 v17, v7, s47, v24
	v_cmp_nlg_f32_e64 s[4:5], |v7|, s46
	v_min_f32_e32 v8, 0x43e00000, v8
	v_add3_u32 v15, v5, v15, s42
	v_cndmask_b32_e32 v6, v16, v6, vcc
	v_max_f32_e32 v9, 0xc3e00000, v9
	v_mul_f32_e32 v2, v20, v2
	v_and_b32_e32 v3, 0xffff0000, v3
	v_cmp_o_f32_e32 vcc, v4, v4
	v_mov_b32_e32 v41, 0
	v_cndmask_b32_e64 v7, v17, v7, s[4:5]
	v_max_f32_e32 v8, 0xc3e00000, v8
	v_mul_f32_e32 v14, v20, v14
	v_and_b32_e32 v4, 0xffff0000, v15
	v_cmp_o_f32_e64 s[0:1], v5, v5
	v_cvt_pk_fp8_f32 v27, v6, v6
	v_med3_f32 v6, v9, s47, v24
	v_cmp_nlg_f32_e64 s[4:5], |v9|, s46
	v_min_f32_e32 v2, 0x43e00000, v2
	v_cndmask_b32_e32 v3, v1, v3, vcc
	v_mov_b32_e32 v45, 0
	v_cvt_pk_fp8_f32 v41, v7, v7
	v_med3_f32 v5, v8, s47, v24
	v_min_f32_e32 v7, 0x43e00000, v14
	v_cndmask_b32_e64 v4, v1, v4, s[0:1]
	v_cmp_nlg_f32_e64 vcc, |v8|, s46
	v_cndmask_b32_e64 v6, v6, v9, s[4:5]
	v_max_f32_e32 v2, 0xc3e00000, v2
	v_mul_f32_e32 v3, v20, v3
	v_mov_b32_e32 v43, 0
	v_cndmask_b32_e32 v5, v5, v8, vcc
	v_max_f32_e32 v7, 0xc3e00000, v7
	v_mul_f32_e32 v4, v20, v4
	v_cvt_pk_fp8_f32 v45, v6, v6
	v_med3_f32 v6, v2, s47, v24
	v_cmp_nlg_f32_e64 vcc, |v2|, s46
	v_min_f32_e32 v3, 0x43e00000, v3
	v_mov_b32_e32 v60, 0
	v_cvt_pk_fp8_f32 v43, v5, v5
	v_med3_f32 v5, v7, s47, v24
	v_min_f32_e32 v4, 0x43e00000, v4
	v_cmp_nlg_f32_e64 s[0:1], |v7|, s46
	v_cndmask_b32_e32 v2, v6, v2, vcc
	v_max_f32_e32 v3, 0xc3e00000, v3
	v_mov_b32_e32 v47, 0
	v_cndmask_b32_e64 v5, v5, v7, s[0:1]
	v_max_f32_e32 v4, 0xc3e00000, v4
	v_cvt_pk_fp8_f32 v60, v2, v2
	v_med3_f32 v2, v3, s47, v24
	v_cmp_nlg_f32_e64 s[0:1], |v3|, s46
	v_mov_b32_e32 v49, 0
	v_cvt_pk_fp8_f32 v47, v5, v5
	v_med3_f32 v5, v4, s47, v24
	v_cmp_nlg_f32_e64 vcc, |v4|, s46
	v_cndmask_b32_e64 v2, v2, v3, s[0:1]
	v_mov_b32_e32 v59, 0
	v_cndmask_b32_e32 v3, v5, v4, vcc
	v_cvt_pk_fp8_f32 v49, v2, v2
	v_cvt_pk_fp8_f32 v59, v3, v3
	v_lshlrev_b32_e32 v6, 8, v41
	v_lshlrev_b32_e32 v2, 16, v43
	v_and_b32_e32 v7, 0xff, v27
	v_and_b32_e32 v4, 0xff00, v6
	v_perm_b32 v2, v45, v2, s48
	v_and_b32_e32 v6, 0xff, v49
	v_or3_b32 v2, v2, v4, v7
	v_lshlrev_b32_e32 v4, 24, v59
	v_lshlrev_b32_e32 v6, 16, v6
	v_lshlrev_b32_sdwa v3, v26, v60 dst_sel:DWORD dst_unused:UNUSED_PAD src0_sel:DWORD src1_sel:BYTE_0
	v_and_b32_e32 v5, 0xff, v47
	v_or_b32_e32 v4, v4, v6
	v_or3_b32 v3, v4, v3, v5
	global_store_dwordx2 v[12:13], v[2:3], off
	v_lshl_add_u64 v[12:13], v[12:13], 0, s[36:37]
	s_andn2_b64 exec, exec, s[38:39]
	s_cbranch_execnz .LBB4_4
.LBB4_5:
	s_or_b64 exec, exec, s[18:19]
	s_sub_i32 s0, 8, s21
	s_cmp_gt_i32 s20, s0
	s_cbranch_scc0 .LBB4_9
; %bb.6:
	v_add_u32_e32 v0, s0, v0
	v_cmp_gt_u32_e32 vcc, s20, v0
	s_and_saveexec_b64 s[0:1], vcc
	s_cbranch_execz .LBB4_9
; %bb.7:
	s_load_dword s4, s[22:23], 0xc
	s_add_u32 s0, s24, s26
	s_addc_u32 s1, s25, s27
	s_lshl_b64 s[2:3], s[2:3], 2
	s_or_b32 s2, s2, 2
	v_mov_b32_e32 v1, 0
	s_mul_i32 s6, s2, s40
	s_mul_hi_u32 s7, s2, s33
	s_mov_b32 s21, 0
	s_waitcnt lgkmcnt(0)
	s_and_b32 s4, s4, 0xffff
	s_add_i32 s6, s7, s6
	s_mul_i32 s3, s3, s33
	v_lshlrev_b32_e32 v2, 1, v0
	v_mov_b32_e32 v3, v1
	s_mov_b32 s5, s21
	s_add_i32 s3, s6, s3
	s_mul_i32 s2, s2, s33
	v_lshl_add_u64 v[2:3], s[16:17], 0, v[2:3]
	s_lshl_b32 s6, s4, 1
	s_mov_b32 s7, s21
	s_lshl_b64 s[8:9], s[26:27], 2
	s_mov_b64 s[10:11], 0
	s_movk_i32 s12, 0x7fff
	v_mov_b32_e32 v4, 0x7fc00000
	s_mov_b32 s13, 0x3fb8aa3b
	s_mov_b32 s14, 0xc2ce8ed0
	;; [unrolled: 1-line block ×4, first 2 shown]
	v_mov_b32_e32 v5, 0x7f800000
	s_mov_b32 s17, 0x43e00000
	v_mov_b32_e32 v6, 0xc3e00000
.LBB4_8:                                ; =>This Inner Loop Header: Depth=1
	v_lshl_add_u64 v[8:9], v[2:3], 0, s[8:9]
	v_lshl_add_u64 v[10:11], v[2:3], 0, s[2:3]
	global_load_ushort v7, v[8:9], off
	global_load_ushort v12, v[10:11], off
	v_mov_b32_e32 v10, 0
	v_lshl_add_u64 v[8:9], s[0:1], 0, v[0:1]
	v_lshl_add_u64 v[0:1], v[0:1], 0, s[4:5]
	;; [unrolled: 1-line block ×3, first 2 shown]
	s_waitcnt vmcnt(1)
	v_lshlrev_b32_e32 v7, 16, v7
	s_waitcnt vmcnt(0)
	v_lshlrev_b32_e32 v11, 16, v12
	v_xor_b32_e32 v12, 0x80000000, v7
	v_bfe_u32 v13, v12, 16, 1
	v_add3_u32 v12, v12, v13, s12
	v_and_b32_e32 v12, 0xffff0000, v12
	v_cmp_o_f32_e32 vcc, v7, v7
	s_nop 1
	v_cndmask_b32_e32 v12, v4, v12, vcc
	v_mul_f32_e32 v13, 0x3fb8aa3b, v12
	v_fma_f32 v14, v12, s13, -v13
	v_rndne_f32_e32 v15, v13
	v_fmac_f32_e32 v14, 0x32a5705f, v12
	v_sub_f32_e32 v13, v13, v15
	v_add_f32_e32 v13, v13, v14
	v_cvt_i32_f32_e32 v15, v15
	v_exp_f32_e32 v13, v13
	v_cmp_ngt_f32_e32 vcc, s14, v12
	v_ldexp_f32 v13, v13, v15
	s_nop 0
	v_cndmask_b32_e32 v13, 0, v13, vcc
	v_cmp_nlt_f32_e32 vcc, s15, v12
	s_nop 1
	v_cndmask_b32_e32 v12, v5, v13, vcc
	v_add_f32_e32 v12, 1.0, v12
	v_div_scale_f32 v13, s[18:19], v12, v12, v7
	v_rcp_f32_e32 v15, v13
	v_div_scale_f32 v14, vcc, v7, v12, v7
	v_fma_f32 v16, -v13, v15, 1.0
	v_fmac_f32_e32 v15, v16, v15
	v_mul_f32_e32 v16, v14, v15
	v_fma_f32 v17, -v13, v16, v14
	v_fmac_f32_e32 v16, v17, v15
	v_fma_f32 v13, -v13, v16, v14
	v_div_fmas_f32 v13, v13, v15, v16
	v_div_fixup_f32 v7, v13, v12, v7
	v_bfe_u32 v12, v7, 16, 1
	v_add3_u32 v12, v7, v12, s12
	v_and_b32_e32 v12, 0xffff0000, v12
	v_cmp_o_f32_e32 vcc, v7, v7
	s_nop 1
	v_cndmask_b32_e32 v7, v4, v12, vcc
	v_mul_f32_e32 v7, v7, v11
	v_bfe_u32 v11, v7, 16, 1
	v_add3_u32 v11, v7, v11, s12
	v_and_b32_e32 v11, 0xffff0000, v11
	v_cmp_o_f32_e32 vcc, v7, v7
	s_nop 1
	v_cndmask_b32_e32 v7, v4, v11, vcc
	v_mul_f32_e32 v7, v20, v7
	v_min_f32_e32 v7, 0x43e00000, v7
	v_max_f32_e32 v7, 0xc3e00000, v7
	v_med3_f32 v11, v7, s17, v6
	v_cmp_nlg_f32_e64 vcc, |v7|, s16
	s_nop 1
	v_cndmask_b32_e32 v7, v11, v7, vcc
	v_cvt_pk_fp8_f32 v10, v7, v7
	v_cmp_le_u64_e32 vcc, s[20:21], v[0:1]
	s_or_b64 s[10:11], vcc, s[10:11]
	global_store_byte v[8:9], v10, off
	s_andn2_b64 exec, exec, s[10:11]
	s_cbranch_execnz .LBB4_8
.LBB4_9:
	s_endpgm
	.section	.rodata,"a",@progbits
	.p2align	6, 0x0
	.amdhsa_kernel _ZN4vllm24act_and_mul_quant_kernelIN3c108BFloat16ETnPFT_RKS3_EXadL_ZNS_11silu_kernelIS2_EES3_S5_EENS1_13Float8_e4m3fnEEEvPT1_PS4_PKfi
		.amdhsa_group_segment_fixed_size 0
		.amdhsa_private_segment_fixed_size 0
		.amdhsa_kernarg_size 288
		.amdhsa_user_sgpr_count 2
		.amdhsa_user_sgpr_dispatch_ptr 0
		.amdhsa_user_sgpr_queue_ptr 0
		.amdhsa_user_sgpr_kernarg_segment_ptr 1
		.amdhsa_user_sgpr_dispatch_id 0
		.amdhsa_user_sgpr_kernarg_preload_length 0
		.amdhsa_user_sgpr_kernarg_preload_offset 0
		.amdhsa_user_sgpr_private_segment_size 0
		.amdhsa_uses_dynamic_stack 0
		.amdhsa_enable_private_segment 0
		.amdhsa_system_sgpr_workgroup_id_x 1
		.amdhsa_system_sgpr_workgroup_id_y 1
		.amdhsa_system_sgpr_workgroup_id_z 0
		.amdhsa_system_sgpr_workgroup_info 0
		.amdhsa_system_vgpr_workitem_id 0
		.amdhsa_next_free_vgpr 61
		.amdhsa_next_free_sgpr 49
		.amdhsa_accum_offset 64
		.amdhsa_reserve_vcc 1
		.amdhsa_float_round_mode_32 0
		.amdhsa_float_round_mode_16_64 0
		.amdhsa_float_denorm_mode_32 3
		.amdhsa_float_denorm_mode_16_64 3
		.amdhsa_dx10_clamp 1
		.amdhsa_ieee_mode 1
		.amdhsa_fp16_overflow 0
		.amdhsa_tg_split 0
		.amdhsa_exception_fp_ieee_invalid_op 0
		.amdhsa_exception_fp_denorm_src 0
		.amdhsa_exception_fp_ieee_div_zero 0
		.amdhsa_exception_fp_ieee_overflow 0
		.amdhsa_exception_fp_ieee_underflow 0
		.amdhsa_exception_fp_ieee_inexact 0
		.amdhsa_exception_int_div_zero 0
	.end_amdhsa_kernel
	.section	.text._ZN4vllm24act_and_mul_quant_kernelIN3c108BFloat16ETnPFT_RKS3_EXadL_ZNS_11silu_kernelIS2_EES3_S5_EENS1_13Float8_e4m3fnEEEvPT1_PS4_PKfi,"axG",@progbits,_ZN4vllm24act_and_mul_quant_kernelIN3c108BFloat16ETnPFT_RKS3_EXadL_ZNS_11silu_kernelIS2_EES3_S5_EENS1_13Float8_e4m3fnEEEvPT1_PS4_PKfi,comdat
.Lfunc_end4:
	.size	_ZN4vllm24act_and_mul_quant_kernelIN3c108BFloat16ETnPFT_RKS3_EXadL_ZNS_11silu_kernelIS2_EES3_S5_EENS1_13Float8_e4m3fnEEEvPT1_PS4_PKfi, .Lfunc_end4-_ZN4vllm24act_and_mul_quant_kernelIN3c108BFloat16ETnPFT_RKS3_EXadL_ZNS_11silu_kernelIS2_EES3_S5_EENS1_13Float8_e4m3fnEEEvPT1_PS4_PKfi
                                        ; -- End function
	.set _ZN4vllm24act_and_mul_quant_kernelIN3c108BFloat16ETnPFT_RKS3_EXadL_ZNS_11silu_kernelIS2_EES3_S5_EENS1_13Float8_e4m3fnEEEvPT1_PS4_PKfi.num_vgpr, 61
	.set _ZN4vllm24act_and_mul_quant_kernelIN3c108BFloat16ETnPFT_RKS3_EXadL_ZNS_11silu_kernelIS2_EES3_S5_EENS1_13Float8_e4m3fnEEEvPT1_PS4_PKfi.num_agpr, 0
	.set _ZN4vllm24act_and_mul_quant_kernelIN3c108BFloat16ETnPFT_RKS3_EXadL_ZNS_11silu_kernelIS2_EES3_S5_EENS1_13Float8_e4m3fnEEEvPT1_PS4_PKfi.numbered_sgpr, 49
	.set _ZN4vllm24act_and_mul_quant_kernelIN3c108BFloat16ETnPFT_RKS3_EXadL_ZNS_11silu_kernelIS2_EES3_S5_EENS1_13Float8_e4m3fnEEEvPT1_PS4_PKfi.num_named_barrier, 0
	.set _ZN4vllm24act_and_mul_quant_kernelIN3c108BFloat16ETnPFT_RKS3_EXadL_ZNS_11silu_kernelIS2_EES3_S5_EENS1_13Float8_e4m3fnEEEvPT1_PS4_PKfi.private_seg_size, 0
	.set _ZN4vllm24act_and_mul_quant_kernelIN3c108BFloat16ETnPFT_RKS3_EXadL_ZNS_11silu_kernelIS2_EES3_S5_EENS1_13Float8_e4m3fnEEEvPT1_PS4_PKfi.uses_vcc, 1
	.set _ZN4vllm24act_and_mul_quant_kernelIN3c108BFloat16ETnPFT_RKS3_EXadL_ZNS_11silu_kernelIS2_EES3_S5_EENS1_13Float8_e4m3fnEEEvPT1_PS4_PKfi.uses_flat_scratch, 0
	.set _ZN4vllm24act_and_mul_quant_kernelIN3c108BFloat16ETnPFT_RKS3_EXadL_ZNS_11silu_kernelIS2_EES3_S5_EENS1_13Float8_e4m3fnEEEvPT1_PS4_PKfi.has_dyn_sized_stack, 0
	.set _ZN4vllm24act_and_mul_quant_kernelIN3c108BFloat16ETnPFT_RKS3_EXadL_ZNS_11silu_kernelIS2_EES3_S5_EENS1_13Float8_e4m3fnEEEvPT1_PS4_PKfi.has_recursion, 0
	.set _ZN4vllm24act_and_mul_quant_kernelIN3c108BFloat16ETnPFT_RKS3_EXadL_ZNS_11silu_kernelIS2_EES3_S5_EENS1_13Float8_e4m3fnEEEvPT1_PS4_PKfi.has_indirect_call, 0
	.section	.AMDGPU.csdata,"",@progbits
; Kernel info:
; codeLenInByte = 4272
; TotalNumSgprs: 55
; NumVgprs: 61
; NumAgprs: 0
; TotalNumVgprs: 61
; ScratchSize: 0
; MemoryBound: 0
; FloatMode: 240
; IeeeMode: 1
; LDSByteSize: 0 bytes/workgroup (compile time only)
; SGPRBlocks: 6
; VGPRBlocks: 7
; NumSGPRsForWavesPerEU: 55
; NumVGPRsForWavesPerEU: 61
; AccumOffset: 64
; Occupancy: 8
; WaveLimiterHint : 0
; COMPUTE_PGM_RSRC2:SCRATCH_EN: 0
; COMPUTE_PGM_RSRC2:USER_SGPR: 2
; COMPUTE_PGM_RSRC2:TRAP_HANDLER: 0
; COMPUTE_PGM_RSRC2:TGID_X_EN: 1
; COMPUTE_PGM_RSRC2:TGID_Y_EN: 1
; COMPUTE_PGM_RSRC2:TGID_Z_EN: 0
; COMPUTE_PGM_RSRC2:TIDIG_COMP_CNT: 0
; COMPUTE_PGM_RSRC3_GFX90A:ACCUM_OFFSET: 15
; COMPUTE_PGM_RSRC3_GFX90A:TG_SPLIT: 0
	.section	.text._ZN4vllm24act_and_mul_quant_kernelIN3c108BFloat16ETnPFT_RKS3_EXadL_ZNS_11silu_kernelIS2_EES3_S5_EENS1_15Float8_e4m3fnuzEEEvPT1_PS4_PKfi,"axG",@progbits,_ZN4vllm24act_and_mul_quant_kernelIN3c108BFloat16ETnPFT_RKS3_EXadL_ZNS_11silu_kernelIS2_EES3_S5_EENS1_15Float8_e4m3fnuzEEEvPT1_PS4_PKfi,comdat
	.protected	_ZN4vllm24act_and_mul_quant_kernelIN3c108BFloat16ETnPFT_RKS3_EXadL_ZNS_11silu_kernelIS2_EES3_S5_EENS1_15Float8_e4m3fnuzEEEvPT1_PS4_PKfi ; -- Begin function _ZN4vllm24act_and_mul_quant_kernelIN3c108BFloat16ETnPFT_RKS3_EXadL_ZNS_11silu_kernelIS2_EES3_S5_EENS1_15Float8_e4m3fnuzEEEvPT1_PS4_PKfi
	.globl	_ZN4vllm24act_and_mul_quant_kernelIN3c108BFloat16ETnPFT_RKS3_EXadL_ZNS_11silu_kernelIS2_EES3_S5_EENS1_15Float8_e4m3fnuzEEEvPT1_PS4_PKfi
	.p2align	8
	.type	_ZN4vllm24act_and_mul_quant_kernelIN3c108BFloat16ETnPFT_RKS3_EXadL_ZNS_11silu_kernelIS2_EES3_S5_EENS1_15Float8_e4m3fnuzEEEvPT1_PS4_PKfi,@function
_ZN4vllm24act_and_mul_quant_kernelIN3c108BFloat16ETnPFT_RKS3_EXadL_ZNS_11silu_kernelIS2_EES3_S5_EENS1_15Float8_e4m3fnuzEEEvPT1_PS4_PKfi: ; @_ZN4vllm24act_and_mul_quant_kernelIN3c108BFloat16ETnPFT_RKS3_EXadL_ZNS_11silu_kernelIS2_EES3_S5_EENS1_15Float8_e4m3fnuzEEEvPT1_PS4_PKfi
; %bb.0:
	s_load_dword s4, s[0:1], 0x24
	s_load_dword s2, s[0:1], 0x18
	s_waitcnt lgkmcnt(0)
	s_abs_i32 s0, s4
	v_cvt_f32_u32_e32 v1, s0
	s_sub_i32 s5, 0, s0
	s_add_i32 s1, s2, s4
	s_add_i32 s1, s1, -1
	v_rcp_iflag_f32_e32 v1, v1
	s_xor_b32 s4, s1, s4
	s_abs_i32 s1, s1
	s_ashr_i32 s4, s4, 31
	v_mul_f32_e32 v1, 0x4f7ffffe, v1
	v_cvt_u32_f32_e32 v1, v1
	s_nop 0
	v_readfirstlane_b32 s6, v1
	s_mul_i32 s5, s5, s6
	s_mul_hi_u32 s5, s6, s5
	s_add_i32 s6, s6, s5
	s_mul_hi_u32 s5, s1, s6
	s_mul_i32 s6, s5, s0
	s_sub_i32 s1, s1, s6
	s_add_i32 s7, s5, 1
	s_sub_i32 s6, s1, s0
	s_cmp_ge_u32 s1, s0
	s_cselect_b32 s5, s7, s5
	s_cselect_b32 s1, s6, s1
	s_add_i32 s6, s5, 1
	s_cmp_ge_u32 s1, s0
	s_cselect_b32 s0, s6, s5
	s_xor_b32 s0, s0, s4
	s_sub_i32 s0, s0, s4
	s_and_b32 s1, s0, 7
	s_cmp_eq_u32 s1, 0
	s_cbranch_scc1 .LBB5_2
; %bb.1:
	s_ashr_i32 s1, s0, 31
	s_lshr_b32 s1, s1, 29
	s_add_i32 s0, s0, s1
	s_and_b32 s0, s0, -8
	s_add_i32 s0, s0, 8
.LBB5_2:
	s_mul_i32 s3, s0, s3
	s_add_i32 s0, s3, s0
	s_min_i32 s4, s0, s2
	s_abs_i32 s0, s4
	v_cvt_f32_u32_e32 v1, s0
	s_sub_i32 s1, 0, s0
	v_rcp_iflag_f32_e32 v1, v1
	s_nop 0
	v_mul_f32_e32 v1, 0x4f7ffffe, v1
	v_cvt_u32_f32_e32 v1, v1
	s_nop 0
	v_readfirstlane_b32 s2, v1
	s_mul_i32 s1, s1, s2
	s_mul_hi_u32 s1, s2, s1
	s_add_i32 s2, s2, s1
	s_lshr_b32 s1, s2, 29
	s_mul_i32 s1, s1, s0
	s_sub_i32 s1, 8, s1
	s_sub_i32 s2, s1, s0
	s_cmp_ge_u32 s1, s0
	s_cselect_b32 s1, s2, s1
	s_sub_i32 s2, s1, s0
	s_cmp_ge_u32 s1, s0
	s_cselect_b32 s5, s2, s1
	s_cmp_eq_u32 s5, 0
	s_cselect_b64 s[0:1], -1, 0
	v_cndmask_b32_e64 v1, 0, 1, s[0:1]
	s_ashr_i32 s0, s3, 31
	s_lshr_b32 s0, s0, 29
	s_add_i32 s3, s3, s0
	s_ashr_i32 s0, s3, 3
	v_add_u32_e32 v2, s0, v0
	v_cmp_ge_i32_e32 vcc, v2, v1
	s_mov_b64 s[2:3], 0
	s_and_saveexec_b64 s[0:1], vcc
	s_xor_b64 s[0:1], exec, s[0:1]
	s_cbranch_execnz .LBB5_6
; %bb.3:
	s_andn2_saveexec_b64 s[0:1], s[0:1]
	s_cbranch_execnz .LBB5_8
.LBB5_4:
	s_or_b64 exec, exec, s[0:1]
	s_and_saveexec_b64 s[0:1], s[2:3]
	s_cbranch_execnz .LBB5_9
.LBB5_5:
	s_endpgm
.LBB5_6:
	s_sub_i32 s2, 8, s5
	v_add_u32_e32 v0, s2, v0
	v_max_i32_e32 v0, s2, v0
	v_cmp_gt_i32_e32 vcc, s4, v0
	s_mov_b64 s[2:3], 0
	s_and_saveexec_b64 s[4:5], vcc
	s_cbranch_execnz .LBB5_10
.LBB5_7:
	s_or_b64 exec, exec, s[4:5]
	s_and_b64 s[2:3], s[2:3], exec
	s_andn2_saveexec_b64 s[0:1], s[0:1]
	s_cbranch_execz .LBB5_4
.LBB5_8:
	s_or_b64 s[2:3], s[2:3], exec
	s_trap 2
	s_or_b64 exec, exec, s[0:1]
	s_and_saveexec_b64 s[0:1], s[2:3]
	s_cbranch_execz .LBB5_5
.LBB5_9:
	; divergent unreachable
	s_endpgm
.LBB5_10:
	s_mov_b64 s[2:3], exec
	s_trap 2
	s_branch .LBB5_7
	.section	.rodata,"a",@progbits
	.p2align	6, 0x0
	.amdhsa_kernel _ZN4vllm24act_and_mul_quant_kernelIN3c108BFloat16ETnPFT_RKS3_EXadL_ZNS_11silu_kernelIS2_EES3_S5_EENS1_15Float8_e4m3fnuzEEEvPT1_PS4_PKfi
		.amdhsa_group_segment_fixed_size 0
		.amdhsa_private_segment_fixed_size 0
		.amdhsa_kernarg_size 288
		.amdhsa_user_sgpr_count 2
		.amdhsa_user_sgpr_dispatch_ptr 0
		.amdhsa_user_sgpr_queue_ptr 0
		.amdhsa_user_sgpr_kernarg_segment_ptr 1
		.amdhsa_user_sgpr_dispatch_id 0
		.amdhsa_user_sgpr_kernarg_preload_length 0
		.amdhsa_user_sgpr_kernarg_preload_offset 0
		.amdhsa_user_sgpr_private_segment_size 0
		.amdhsa_uses_dynamic_stack 0
		.amdhsa_enable_private_segment 0
		.amdhsa_system_sgpr_workgroup_id_x 1
		.amdhsa_system_sgpr_workgroup_id_y 1
		.amdhsa_system_sgpr_workgroup_id_z 0
		.amdhsa_system_sgpr_workgroup_info 0
		.amdhsa_system_vgpr_workitem_id 0
		.amdhsa_next_free_vgpr 3
		.amdhsa_next_free_sgpr 8
		.amdhsa_accum_offset 4
		.amdhsa_reserve_vcc 1
		.amdhsa_float_round_mode_32 0
		.amdhsa_float_round_mode_16_64 0
		.amdhsa_float_denorm_mode_32 3
		.amdhsa_float_denorm_mode_16_64 3
		.amdhsa_dx10_clamp 1
		.amdhsa_ieee_mode 1
		.amdhsa_fp16_overflow 0
		.amdhsa_tg_split 0
		.amdhsa_exception_fp_ieee_invalid_op 0
		.amdhsa_exception_fp_denorm_src 0
		.amdhsa_exception_fp_ieee_div_zero 0
		.amdhsa_exception_fp_ieee_overflow 0
		.amdhsa_exception_fp_ieee_underflow 0
		.amdhsa_exception_fp_ieee_inexact 0
		.amdhsa_exception_int_div_zero 0
	.end_amdhsa_kernel
	.section	.text._ZN4vllm24act_and_mul_quant_kernelIN3c108BFloat16ETnPFT_RKS3_EXadL_ZNS_11silu_kernelIS2_EES3_S5_EENS1_15Float8_e4m3fnuzEEEvPT1_PS4_PKfi,"axG",@progbits,_ZN4vllm24act_and_mul_quant_kernelIN3c108BFloat16ETnPFT_RKS3_EXadL_ZNS_11silu_kernelIS2_EES3_S5_EENS1_15Float8_e4m3fnuzEEEvPT1_PS4_PKfi,comdat
.Lfunc_end5:
	.size	_ZN4vllm24act_and_mul_quant_kernelIN3c108BFloat16ETnPFT_RKS3_EXadL_ZNS_11silu_kernelIS2_EES3_S5_EENS1_15Float8_e4m3fnuzEEEvPT1_PS4_PKfi, .Lfunc_end5-_ZN4vllm24act_and_mul_quant_kernelIN3c108BFloat16ETnPFT_RKS3_EXadL_ZNS_11silu_kernelIS2_EES3_S5_EENS1_15Float8_e4m3fnuzEEEvPT1_PS4_PKfi
                                        ; -- End function
	.set _ZN4vllm24act_and_mul_quant_kernelIN3c108BFloat16ETnPFT_RKS3_EXadL_ZNS_11silu_kernelIS2_EES3_S5_EENS1_15Float8_e4m3fnuzEEEvPT1_PS4_PKfi.num_vgpr, 3
	.set _ZN4vllm24act_and_mul_quant_kernelIN3c108BFloat16ETnPFT_RKS3_EXadL_ZNS_11silu_kernelIS2_EES3_S5_EENS1_15Float8_e4m3fnuzEEEvPT1_PS4_PKfi.num_agpr, 0
	.set _ZN4vllm24act_and_mul_quant_kernelIN3c108BFloat16ETnPFT_RKS3_EXadL_ZNS_11silu_kernelIS2_EES3_S5_EENS1_15Float8_e4m3fnuzEEEvPT1_PS4_PKfi.numbered_sgpr, 8
	.set _ZN4vllm24act_and_mul_quant_kernelIN3c108BFloat16ETnPFT_RKS3_EXadL_ZNS_11silu_kernelIS2_EES3_S5_EENS1_15Float8_e4m3fnuzEEEvPT1_PS4_PKfi.num_named_barrier, 0
	.set _ZN4vllm24act_and_mul_quant_kernelIN3c108BFloat16ETnPFT_RKS3_EXadL_ZNS_11silu_kernelIS2_EES3_S5_EENS1_15Float8_e4m3fnuzEEEvPT1_PS4_PKfi.private_seg_size, 0
	.set _ZN4vllm24act_and_mul_quant_kernelIN3c108BFloat16ETnPFT_RKS3_EXadL_ZNS_11silu_kernelIS2_EES3_S5_EENS1_15Float8_e4m3fnuzEEEvPT1_PS4_PKfi.uses_vcc, 1
	.set _ZN4vllm24act_and_mul_quant_kernelIN3c108BFloat16ETnPFT_RKS3_EXadL_ZNS_11silu_kernelIS2_EES3_S5_EENS1_15Float8_e4m3fnuzEEEvPT1_PS4_PKfi.uses_flat_scratch, 0
	.set _ZN4vllm24act_and_mul_quant_kernelIN3c108BFloat16ETnPFT_RKS3_EXadL_ZNS_11silu_kernelIS2_EES3_S5_EENS1_15Float8_e4m3fnuzEEEvPT1_PS4_PKfi.has_dyn_sized_stack, 0
	.set _ZN4vllm24act_and_mul_quant_kernelIN3c108BFloat16ETnPFT_RKS3_EXadL_ZNS_11silu_kernelIS2_EES3_S5_EENS1_15Float8_e4m3fnuzEEEvPT1_PS4_PKfi.has_recursion, 0
	.set _ZN4vllm24act_and_mul_quant_kernelIN3c108BFloat16ETnPFT_RKS3_EXadL_ZNS_11silu_kernelIS2_EES3_S5_EENS1_15Float8_e4m3fnuzEEEvPT1_PS4_PKfi.has_indirect_call, 0
	.section	.AMDGPU.csdata,"",@progbits
; Kernel info:
; codeLenInByte = 432
; TotalNumSgprs: 14
; NumVgprs: 3
; NumAgprs: 0
; TotalNumVgprs: 3
; ScratchSize: 0
; MemoryBound: 0
; FloatMode: 240
; IeeeMode: 1
; LDSByteSize: 0 bytes/workgroup (compile time only)
; SGPRBlocks: 1
; VGPRBlocks: 0
; NumSGPRsForWavesPerEU: 14
; NumVGPRsForWavesPerEU: 3
; AccumOffset: 4
; Occupancy: 8
; WaveLimiterHint : 0
; COMPUTE_PGM_RSRC2:SCRATCH_EN: 0
; COMPUTE_PGM_RSRC2:USER_SGPR: 2
; COMPUTE_PGM_RSRC2:TRAP_HANDLER: 0
; COMPUTE_PGM_RSRC2:TGID_X_EN: 1
; COMPUTE_PGM_RSRC2:TGID_Y_EN: 1
; COMPUTE_PGM_RSRC2:TGID_Z_EN: 0
; COMPUTE_PGM_RSRC2:TIDIG_COMP_CNT: 0
; COMPUTE_PGM_RSRC3_GFX90A:ACCUM_OFFSET: 0
; COMPUTE_PGM_RSRC3_GFX90A:TG_SPLIT: 0
	.section	.AMDGPU.gpr_maximums,"",@progbits
	.set amdgpu.max_num_vgpr, 0
	.set amdgpu.max_num_agpr, 0
	.set amdgpu.max_num_sgpr, 0
	.section	.AMDGPU.csdata,"",@progbits
	.type	__hip_cuid_7937b6157f8db89b,@object ; @__hip_cuid_7937b6157f8db89b
	.section	.bss,"aw",@nobits
	.globl	__hip_cuid_7937b6157f8db89b
__hip_cuid_7937b6157f8db89b:
	.byte	0                               ; 0x0
	.size	__hip_cuid_7937b6157f8db89b, 1

	.ident	"AMD clang version 22.0.0git (https://github.com/RadeonOpenCompute/llvm-project roc-7.2.4 26084 f58b06dce1f9c15707c5f808fd002e18c2accf7e)"
	.section	".note.GNU-stack","",@progbits
	.addrsig
	.addrsig_sym __hip_cuid_7937b6157f8db89b
	.amdgpu_metadata
---
amdhsa.kernels:
  - .agpr_count:     0
    .args:
      - .actual_access:  write_only
        .address_space:  global
        .offset:         0
        .size:           8
        .value_kind:     global_buffer
      - .actual_access:  read_only
        .address_space:  global
        .offset:         8
        .size:           8
        .value_kind:     global_buffer
      - .address_space:  global
        .offset:         16
        .size:           8
        .value_kind:     global_buffer
      - .offset:         24
        .size:           4
        .value_kind:     by_value
      - .offset:         32
        .size:           4
        .value_kind:     hidden_block_count_x
      - .offset:         36
        .size:           4
        .value_kind:     hidden_block_count_y
      - .offset:         40
        .size:           4
        .value_kind:     hidden_block_count_z
      - .offset:         44
        .size:           2
        .value_kind:     hidden_group_size_x
      - .offset:         46
        .size:           2
        .value_kind:     hidden_group_size_y
      - .offset:         48
        .size:           2
        .value_kind:     hidden_group_size_z
      - .offset:         50
        .size:           2
        .value_kind:     hidden_remainder_x
      - .offset:         52
        .size:           2
        .value_kind:     hidden_remainder_y
      - .offset:         54
        .size:           2
        .value_kind:     hidden_remainder_z
      - .offset:         72
        .size:           8
        .value_kind:     hidden_global_offset_x
      - .offset:         80
        .size:           8
        .value_kind:     hidden_global_offset_y
      - .offset:         88
        .size:           8
        .value_kind:     hidden_global_offset_z
      - .offset:         96
        .size:           2
        .value_kind:     hidden_grid_dims
    .group_segment_fixed_size: 0
    .kernarg_segment_align: 8
    .kernarg_segment_size: 288
    .language:       OpenCL C
    .language_version:
      - 2
      - 0
    .max_flat_workgroup_size: 1024
    .name:           _ZN4vllm24act_and_mul_quant_kernelIfTnPFT_RKS1_EXadL_ZNS_11silu_kernelIfEES1_S3_EEN3c1013Float8_e4m3fnEEEvPT1_PS2_PKfi
    .private_segment_fixed_size: 0
    .sgpr_count:     46
    .sgpr_spill_count: 0
    .symbol:         _ZN4vllm24act_and_mul_quant_kernelIfTnPFT_RKS1_EXadL_ZNS_11silu_kernelIfEES1_S3_EEN3c1013Float8_e4m3fnEEEvPT1_PS2_PKfi.kd
    .uniform_work_group_size: 1
    .uses_dynamic_stack: false
    .vgpr_count:     47
    .vgpr_spill_count: 0
    .wavefront_size: 64
  - .agpr_count:     0
    .args:
      - .actual_access:  read_only
        .address_space:  global
        .offset:         0
        .size:           8
        .value_kind:     global_buffer
      - .actual_access:  read_only
        .address_space:  global
        .offset:         8
        .size:           8
        .value_kind:     global_buffer
      - .address_space:  global
        .offset:         16
        .size:           8
        .value_kind:     global_buffer
      - .offset:         24
        .size:           4
        .value_kind:     by_value
      - .offset:         32
        .size:           4
        .value_kind:     hidden_block_count_x
      - .offset:         36
        .size:           4
        .value_kind:     hidden_block_count_y
      - .offset:         40
        .size:           4
        .value_kind:     hidden_block_count_z
      - .offset:         44
        .size:           2
        .value_kind:     hidden_group_size_x
      - .offset:         46
        .size:           2
        .value_kind:     hidden_group_size_y
      - .offset:         48
        .size:           2
        .value_kind:     hidden_group_size_z
      - .offset:         50
        .size:           2
        .value_kind:     hidden_remainder_x
      - .offset:         52
        .size:           2
        .value_kind:     hidden_remainder_y
      - .offset:         54
        .size:           2
        .value_kind:     hidden_remainder_z
      - .offset:         72
        .size:           8
        .value_kind:     hidden_global_offset_x
      - .offset:         80
        .size:           8
        .value_kind:     hidden_global_offset_y
      - .offset:         88
        .size:           8
        .value_kind:     hidden_global_offset_z
      - .offset:         96
        .size:           2
        .value_kind:     hidden_grid_dims
    .group_segment_fixed_size: 0
    .kernarg_segment_align: 8
    .kernarg_segment_size: 288
    .language:       OpenCL C
    .language_version:
      - 2
      - 0
    .max_flat_workgroup_size: 1024
    .name:           _ZN4vllm24act_and_mul_quant_kernelIfTnPFT_RKS1_EXadL_ZNS_11silu_kernelIfEES1_S3_EEN3c1015Float8_e4m3fnuzEEEvPT1_PS2_PKfi
    .private_segment_fixed_size: 0
    .sgpr_count:     14
    .sgpr_spill_count: 0
    .symbol:         _ZN4vllm24act_and_mul_quant_kernelIfTnPFT_RKS1_EXadL_ZNS_11silu_kernelIfEES1_S3_EEN3c1015Float8_e4m3fnuzEEEvPT1_PS2_PKfi.kd
    .uniform_work_group_size: 1
    .uses_dynamic_stack: false
    .vgpr_count:     3
    .vgpr_spill_count: 0
    .wavefront_size: 64
  - .agpr_count:     0
    .args:
      - .actual_access:  write_only
        .address_space:  global
        .offset:         0
        .size:           8
        .value_kind:     global_buffer
      - .actual_access:  read_only
        .address_space:  global
        .offset:         8
        .size:           8
        .value_kind:     global_buffer
      - .address_space:  global
        .offset:         16
        .size:           8
        .value_kind:     global_buffer
      - .offset:         24
        .size:           4
        .value_kind:     by_value
      - .offset:         32
        .size:           4
        .value_kind:     hidden_block_count_x
      - .offset:         36
        .size:           4
        .value_kind:     hidden_block_count_y
      - .offset:         40
        .size:           4
        .value_kind:     hidden_block_count_z
      - .offset:         44
        .size:           2
        .value_kind:     hidden_group_size_x
      - .offset:         46
        .size:           2
        .value_kind:     hidden_group_size_y
      - .offset:         48
        .size:           2
        .value_kind:     hidden_group_size_z
      - .offset:         50
        .size:           2
        .value_kind:     hidden_remainder_x
      - .offset:         52
        .size:           2
        .value_kind:     hidden_remainder_y
      - .offset:         54
        .size:           2
        .value_kind:     hidden_remainder_z
      - .offset:         72
        .size:           8
        .value_kind:     hidden_global_offset_x
      - .offset:         80
        .size:           8
        .value_kind:     hidden_global_offset_y
      - .offset:         88
        .size:           8
        .value_kind:     hidden_global_offset_z
      - .offset:         96
        .size:           2
        .value_kind:     hidden_grid_dims
    .group_segment_fixed_size: 0
    .kernarg_segment_align: 8
    .kernarg_segment_size: 288
    .language:       OpenCL C
    .language_version:
      - 2
      - 0
    .max_flat_workgroup_size: 1024
    .name:           _ZN4vllm24act_and_mul_quant_kernelIN3c104HalfETnPFT_RKS3_EXadL_ZNS_11silu_kernelIS2_EES3_S5_EENS1_13Float8_e4m3fnEEEvPT1_PS4_PKfi
    .private_segment_fixed_size: 0
    .sgpr_count:     55
    .sgpr_spill_count: 0
    .symbol:         _ZN4vllm24act_and_mul_quant_kernelIN3c104HalfETnPFT_RKS3_EXadL_ZNS_11silu_kernelIS2_EES3_S5_EENS1_13Float8_e4m3fnEEEvPT1_PS4_PKfi.kd
    .uniform_work_group_size: 1
    .uses_dynamic_stack: false
    .vgpr_count:     61
    .vgpr_spill_count: 0
    .wavefront_size: 64
  - .agpr_count:     0
    .args:
      - .actual_access:  read_only
        .address_space:  global
        .offset:         0
        .size:           8
        .value_kind:     global_buffer
      - .actual_access:  read_only
        .address_space:  global
        .offset:         8
        .size:           8
        .value_kind:     global_buffer
      - .address_space:  global
        .offset:         16
        .size:           8
        .value_kind:     global_buffer
      - .offset:         24
        .size:           4
        .value_kind:     by_value
      - .offset:         32
        .size:           4
        .value_kind:     hidden_block_count_x
      - .offset:         36
        .size:           4
        .value_kind:     hidden_block_count_y
      - .offset:         40
        .size:           4
        .value_kind:     hidden_block_count_z
      - .offset:         44
        .size:           2
        .value_kind:     hidden_group_size_x
      - .offset:         46
        .size:           2
        .value_kind:     hidden_group_size_y
      - .offset:         48
        .size:           2
        .value_kind:     hidden_group_size_z
      - .offset:         50
        .size:           2
        .value_kind:     hidden_remainder_x
      - .offset:         52
        .size:           2
        .value_kind:     hidden_remainder_y
      - .offset:         54
        .size:           2
        .value_kind:     hidden_remainder_z
      - .offset:         72
        .size:           8
        .value_kind:     hidden_global_offset_x
      - .offset:         80
        .size:           8
        .value_kind:     hidden_global_offset_y
      - .offset:         88
        .size:           8
        .value_kind:     hidden_global_offset_z
      - .offset:         96
        .size:           2
        .value_kind:     hidden_grid_dims
    .group_segment_fixed_size: 0
    .kernarg_segment_align: 8
    .kernarg_segment_size: 288
    .language:       OpenCL C
    .language_version:
      - 2
      - 0
    .max_flat_workgroup_size: 1024
    .name:           _ZN4vllm24act_and_mul_quant_kernelIN3c104HalfETnPFT_RKS3_EXadL_ZNS_11silu_kernelIS2_EES3_S5_EENS1_15Float8_e4m3fnuzEEEvPT1_PS4_PKfi
    .private_segment_fixed_size: 0
    .sgpr_count:     14
    .sgpr_spill_count: 0
    .symbol:         _ZN4vllm24act_and_mul_quant_kernelIN3c104HalfETnPFT_RKS3_EXadL_ZNS_11silu_kernelIS2_EES3_S5_EENS1_15Float8_e4m3fnuzEEEvPT1_PS4_PKfi.kd
    .uniform_work_group_size: 1
    .uses_dynamic_stack: false
    .vgpr_count:     3
    .vgpr_spill_count: 0
    .wavefront_size: 64
  - .agpr_count:     0
    .args:
      - .actual_access:  write_only
        .address_space:  global
        .offset:         0
        .size:           8
        .value_kind:     global_buffer
      - .actual_access:  read_only
        .address_space:  global
        .offset:         8
        .size:           8
        .value_kind:     global_buffer
      - .address_space:  global
        .offset:         16
        .size:           8
        .value_kind:     global_buffer
      - .offset:         24
        .size:           4
        .value_kind:     by_value
      - .offset:         32
        .size:           4
        .value_kind:     hidden_block_count_x
      - .offset:         36
        .size:           4
        .value_kind:     hidden_block_count_y
      - .offset:         40
        .size:           4
        .value_kind:     hidden_block_count_z
      - .offset:         44
        .size:           2
        .value_kind:     hidden_group_size_x
      - .offset:         46
        .size:           2
        .value_kind:     hidden_group_size_y
      - .offset:         48
        .size:           2
        .value_kind:     hidden_group_size_z
      - .offset:         50
        .size:           2
        .value_kind:     hidden_remainder_x
      - .offset:         52
        .size:           2
        .value_kind:     hidden_remainder_y
      - .offset:         54
        .size:           2
        .value_kind:     hidden_remainder_z
      - .offset:         72
        .size:           8
        .value_kind:     hidden_global_offset_x
      - .offset:         80
        .size:           8
        .value_kind:     hidden_global_offset_y
      - .offset:         88
        .size:           8
        .value_kind:     hidden_global_offset_z
      - .offset:         96
        .size:           2
        .value_kind:     hidden_grid_dims
    .group_segment_fixed_size: 0
    .kernarg_segment_align: 8
    .kernarg_segment_size: 288
    .language:       OpenCL C
    .language_version:
      - 2
      - 0
    .max_flat_workgroup_size: 1024
    .name:           _ZN4vllm24act_and_mul_quant_kernelIN3c108BFloat16ETnPFT_RKS3_EXadL_ZNS_11silu_kernelIS2_EES3_S5_EENS1_13Float8_e4m3fnEEEvPT1_PS4_PKfi
    .private_segment_fixed_size: 0
    .sgpr_count:     55
    .sgpr_spill_count: 0
    .symbol:         _ZN4vllm24act_and_mul_quant_kernelIN3c108BFloat16ETnPFT_RKS3_EXadL_ZNS_11silu_kernelIS2_EES3_S5_EENS1_13Float8_e4m3fnEEEvPT1_PS4_PKfi.kd
    .uniform_work_group_size: 1
    .uses_dynamic_stack: false
    .vgpr_count:     61
    .vgpr_spill_count: 0
    .wavefront_size: 64
  - .agpr_count:     0
    .args:
      - .actual_access:  read_only
        .address_space:  global
        .offset:         0
        .size:           8
        .value_kind:     global_buffer
      - .actual_access:  read_only
        .address_space:  global
        .offset:         8
        .size:           8
        .value_kind:     global_buffer
      - .address_space:  global
        .offset:         16
        .size:           8
        .value_kind:     global_buffer
      - .offset:         24
        .size:           4
        .value_kind:     by_value
      - .offset:         32
        .size:           4
        .value_kind:     hidden_block_count_x
      - .offset:         36
        .size:           4
        .value_kind:     hidden_block_count_y
      - .offset:         40
        .size:           4
        .value_kind:     hidden_block_count_z
      - .offset:         44
        .size:           2
        .value_kind:     hidden_group_size_x
      - .offset:         46
        .size:           2
        .value_kind:     hidden_group_size_y
      - .offset:         48
        .size:           2
        .value_kind:     hidden_group_size_z
      - .offset:         50
        .size:           2
        .value_kind:     hidden_remainder_x
      - .offset:         52
        .size:           2
        .value_kind:     hidden_remainder_y
      - .offset:         54
        .size:           2
        .value_kind:     hidden_remainder_z
      - .offset:         72
        .size:           8
        .value_kind:     hidden_global_offset_x
      - .offset:         80
        .size:           8
        .value_kind:     hidden_global_offset_y
      - .offset:         88
        .size:           8
        .value_kind:     hidden_global_offset_z
      - .offset:         96
        .size:           2
        .value_kind:     hidden_grid_dims
    .group_segment_fixed_size: 0
    .kernarg_segment_align: 8
    .kernarg_segment_size: 288
    .language:       OpenCL C
    .language_version:
      - 2
      - 0
    .max_flat_workgroup_size: 1024
    .name:           _ZN4vllm24act_and_mul_quant_kernelIN3c108BFloat16ETnPFT_RKS3_EXadL_ZNS_11silu_kernelIS2_EES3_S5_EENS1_15Float8_e4m3fnuzEEEvPT1_PS4_PKfi
    .private_segment_fixed_size: 0
    .sgpr_count:     14
    .sgpr_spill_count: 0
    .symbol:         _ZN4vllm24act_and_mul_quant_kernelIN3c108BFloat16ETnPFT_RKS3_EXadL_ZNS_11silu_kernelIS2_EES3_S5_EENS1_15Float8_e4m3fnuzEEEvPT1_PS4_PKfi.kd
    .uniform_work_group_size: 1
    .uses_dynamic_stack: false
    .vgpr_count:     3
    .vgpr_spill_count: 0
    .wavefront_size: 64
amdhsa.target:   amdgcn-amd-amdhsa--gfx950
amdhsa.version:
  - 1
  - 2
...

	.end_amdgpu_metadata
